;; amdgpu-corpus repo=ROCm/rocSPARSE kind=compiled arch=gfx906 opt=O3
	.amdgcn_target "amdgcn-amd-amdhsa--gfx906"
	.amdhsa_code_object_version 6
	.section	.text._ZN9rocsparseL19check_row_ptr_arrayILj256EiiEEvT1_PKT0_P22rocsparse_data_status_,"axG",@progbits,_ZN9rocsparseL19check_row_ptr_arrayILj256EiiEEvT1_PKT0_P22rocsparse_data_status_,comdat
	.globl	_ZN9rocsparseL19check_row_ptr_arrayILj256EiiEEvT1_PKT0_P22rocsparse_data_status_ ; -- Begin function _ZN9rocsparseL19check_row_ptr_arrayILj256EiiEEvT1_PKT0_P22rocsparse_data_status_
	.p2align	8
	.type	_ZN9rocsparseL19check_row_ptr_arrayILj256EiiEEvT1_PKT0_P22rocsparse_data_status_,@function
_ZN9rocsparseL19check_row_ptr_arrayILj256EiiEEvT1_PKT0_P22rocsparse_data_status_: ; @_ZN9rocsparseL19check_row_ptr_arrayILj256EiiEEvT1_PKT0_P22rocsparse_data_status_
; %bb.0:
	s_load_dword s0, s[4:5], 0x0
	v_lshl_or_b32 v0, s6, 8, v0
	s_waitcnt lgkmcnt(0)
	v_cmp_gt_i32_e32 vcc, s0, v0
	s_and_saveexec_b64 s[0:1], vcc
	s_cbranch_execz .LBB0_3
; %bb.1:
	s_load_dwordx2 s[0:1], s[4:5], 0x8
	v_ashrrev_i32_e32 v1, 31, v0
	v_lshlrev_b64 v[0:1], 2, v[0:1]
	s_waitcnt lgkmcnt(0)
	v_mov_b32_e32 v2, s1
	v_add_co_u32_e32 v0, vcc, s0, v0
	v_addc_co_u32_e32 v1, vcc, v2, v1, vcc
	global_load_dwordx2 v[0:1], v[0:1], off
	s_load_dword s0, s[0:1], 0x0
	s_waitcnt vmcnt(0) lgkmcnt(0)
	v_cmp_gt_i32_e32 vcc, s0, v0
	v_max_i32_e32 v0, s0, v0
	v_cmp_gt_i32_e64 s[0:1], v0, v1
	s_or_b64 s[0:1], vcc, s[0:1]
	s_and_b64 exec, exec, s[0:1]
	s_cbranch_execz .LBB0_3
; %bb.2:
	s_load_dwordx2 s[0:1], s[4:5], 0x10
	v_mov_b32_e32 v0, 0
	v_mov_b32_e32 v1, 3
	s_waitcnt lgkmcnt(0)
	global_store_dword v0, v1, s[0:1]
.LBB0_3:
	s_endpgm
	.section	.rodata,"a",@progbits
	.p2align	6, 0x0
	.amdhsa_kernel _ZN9rocsparseL19check_row_ptr_arrayILj256EiiEEvT1_PKT0_P22rocsparse_data_status_
		.amdhsa_group_segment_fixed_size 0
		.amdhsa_private_segment_fixed_size 0
		.amdhsa_kernarg_size 24
		.amdhsa_user_sgpr_count 6
		.amdhsa_user_sgpr_private_segment_buffer 1
		.amdhsa_user_sgpr_dispatch_ptr 0
		.amdhsa_user_sgpr_queue_ptr 0
		.amdhsa_user_sgpr_kernarg_segment_ptr 1
		.amdhsa_user_sgpr_dispatch_id 0
		.amdhsa_user_sgpr_flat_scratch_init 0
		.amdhsa_user_sgpr_private_segment_size 0
		.amdhsa_uses_dynamic_stack 0
		.amdhsa_system_sgpr_private_segment_wavefront_offset 0
		.amdhsa_system_sgpr_workgroup_id_x 1
		.amdhsa_system_sgpr_workgroup_id_y 0
		.amdhsa_system_sgpr_workgroup_id_z 0
		.amdhsa_system_sgpr_workgroup_info 0
		.amdhsa_system_vgpr_workitem_id 0
		.amdhsa_next_free_vgpr 3
		.amdhsa_next_free_sgpr 7
		.amdhsa_reserve_vcc 1
		.amdhsa_reserve_flat_scratch 0
		.amdhsa_float_round_mode_32 0
		.amdhsa_float_round_mode_16_64 0
		.amdhsa_float_denorm_mode_32 3
		.amdhsa_float_denorm_mode_16_64 3
		.amdhsa_dx10_clamp 1
		.amdhsa_ieee_mode 1
		.amdhsa_fp16_overflow 0
		.amdhsa_exception_fp_ieee_invalid_op 0
		.amdhsa_exception_fp_denorm_src 0
		.amdhsa_exception_fp_ieee_div_zero 0
		.amdhsa_exception_fp_ieee_overflow 0
		.amdhsa_exception_fp_ieee_underflow 0
		.amdhsa_exception_fp_ieee_inexact 0
		.amdhsa_exception_int_div_zero 0
	.end_amdhsa_kernel
	.section	.text._ZN9rocsparseL19check_row_ptr_arrayILj256EiiEEvT1_PKT0_P22rocsparse_data_status_,"axG",@progbits,_ZN9rocsparseL19check_row_ptr_arrayILj256EiiEEvT1_PKT0_P22rocsparse_data_status_,comdat
.Lfunc_end0:
	.size	_ZN9rocsparseL19check_row_ptr_arrayILj256EiiEEvT1_PKT0_P22rocsparse_data_status_, .Lfunc_end0-_ZN9rocsparseL19check_row_ptr_arrayILj256EiiEEvT1_PKT0_P22rocsparse_data_status_
                                        ; -- End function
	.set _ZN9rocsparseL19check_row_ptr_arrayILj256EiiEEvT1_PKT0_P22rocsparse_data_status_.num_vgpr, 3
	.set _ZN9rocsparseL19check_row_ptr_arrayILj256EiiEEvT1_PKT0_P22rocsparse_data_status_.num_agpr, 0
	.set _ZN9rocsparseL19check_row_ptr_arrayILj256EiiEEvT1_PKT0_P22rocsparse_data_status_.numbered_sgpr, 7
	.set _ZN9rocsparseL19check_row_ptr_arrayILj256EiiEEvT1_PKT0_P22rocsparse_data_status_.num_named_barrier, 0
	.set _ZN9rocsparseL19check_row_ptr_arrayILj256EiiEEvT1_PKT0_P22rocsparse_data_status_.private_seg_size, 0
	.set _ZN9rocsparseL19check_row_ptr_arrayILj256EiiEEvT1_PKT0_P22rocsparse_data_status_.uses_vcc, 1
	.set _ZN9rocsparseL19check_row_ptr_arrayILj256EiiEEvT1_PKT0_P22rocsparse_data_status_.uses_flat_scratch, 0
	.set _ZN9rocsparseL19check_row_ptr_arrayILj256EiiEEvT1_PKT0_P22rocsparse_data_status_.has_dyn_sized_stack, 0
	.set _ZN9rocsparseL19check_row_ptr_arrayILj256EiiEEvT1_PKT0_P22rocsparse_data_status_.has_recursion, 0
	.set _ZN9rocsparseL19check_row_ptr_arrayILj256EiiEEvT1_PKT0_P22rocsparse_data_status_.has_indirect_call, 0
	.section	.AMDGPU.csdata,"",@progbits
; Kernel info:
; codeLenInByte = 148
; TotalNumSgprs: 11
; NumVgprs: 3
; ScratchSize: 0
; MemoryBound: 0
; FloatMode: 240
; IeeeMode: 1
; LDSByteSize: 0 bytes/workgroup (compile time only)
; SGPRBlocks: 1
; VGPRBlocks: 0
; NumSGPRsForWavesPerEU: 11
; NumVGPRsForWavesPerEU: 3
; Occupancy: 10
; WaveLimiterHint : 0
; COMPUTE_PGM_RSRC2:SCRATCH_EN: 0
; COMPUTE_PGM_RSRC2:USER_SGPR: 6
; COMPUTE_PGM_RSRC2:TRAP_HANDLER: 0
; COMPUTE_PGM_RSRC2:TGID_X_EN: 1
; COMPUTE_PGM_RSRC2:TGID_Y_EN: 0
; COMPUTE_PGM_RSRC2:TGID_Z_EN: 0
; COMPUTE_PGM_RSRC2:TIDIG_COMP_CNT: 0
	.section	.text._ZN9rocsparseL20shift_offsets_kernelILj512EiiEEvT1_PKT0_PS2_,"axG",@progbits,_ZN9rocsparseL20shift_offsets_kernelILj512EiiEEvT1_PKT0_PS2_,comdat
	.globl	_ZN9rocsparseL20shift_offsets_kernelILj512EiiEEvT1_PKT0_PS2_ ; -- Begin function _ZN9rocsparseL20shift_offsets_kernelILj512EiiEEvT1_PKT0_PS2_
	.p2align	8
	.type	_ZN9rocsparseL20shift_offsets_kernelILj512EiiEEvT1_PKT0_PS2_,@function
_ZN9rocsparseL20shift_offsets_kernelILj512EiiEEvT1_PKT0_PS2_: ; @_ZN9rocsparseL20shift_offsets_kernelILj512EiiEEvT1_PKT0_PS2_
; %bb.0:
	s_load_dword s0, s[4:5], 0x0
	v_lshl_or_b32 v0, s6, 9, v0
	s_waitcnt lgkmcnt(0)
	v_cmp_gt_i32_e32 vcc, s0, v0
	s_and_saveexec_b64 s[0:1], vcc
	s_cbranch_execz .LBB1_2
; %bb.1:
	s_load_dwordx4 s[0:3], s[4:5], 0x8
	v_ashrrev_i32_e32 v1, 31, v0
	v_lshlrev_b64 v[0:1], 2, v[0:1]
	s_waitcnt lgkmcnt(0)
	v_mov_b32_e32 v3, s1
	v_add_co_u32_e32 v2, vcc, s0, v0
	v_addc_co_u32_e32 v3, vcc, v3, v1, vcc
	global_load_dword v2, v[2:3], off
	s_load_dword s0, s[0:1], 0x0
	v_mov_b32_e32 v3, s3
	v_add_co_u32_e32 v0, vcc, s2, v0
	v_addc_co_u32_e32 v1, vcc, v3, v1, vcc
	s_waitcnt vmcnt(0) lgkmcnt(0)
	v_subrev_u32_e32 v2, s0, v2
	global_store_dword v[0:1], v2, off
.LBB1_2:
	s_endpgm
	.section	.rodata,"a",@progbits
	.p2align	6, 0x0
	.amdhsa_kernel _ZN9rocsparseL20shift_offsets_kernelILj512EiiEEvT1_PKT0_PS2_
		.amdhsa_group_segment_fixed_size 0
		.amdhsa_private_segment_fixed_size 0
		.amdhsa_kernarg_size 24
		.amdhsa_user_sgpr_count 6
		.amdhsa_user_sgpr_private_segment_buffer 1
		.amdhsa_user_sgpr_dispatch_ptr 0
		.amdhsa_user_sgpr_queue_ptr 0
		.amdhsa_user_sgpr_kernarg_segment_ptr 1
		.amdhsa_user_sgpr_dispatch_id 0
		.amdhsa_user_sgpr_flat_scratch_init 0
		.amdhsa_user_sgpr_private_segment_size 0
		.amdhsa_uses_dynamic_stack 0
		.amdhsa_system_sgpr_private_segment_wavefront_offset 0
		.amdhsa_system_sgpr_workgroup_id_x 1
		.amdhsa_system_sgpr_workgroup_id_y 0
		.amdhsa_system_sgpr_workgroup_id_z 0
		.amdhsa_system_sgpr_workgroup_info 0
		.amdhsa_system_vgpr_workitem_id 0
		.amdhsa_next_free_vgpr 4
		.amdhsa_next_free_sgpr 7
		.amdhsa_reserve_vcc 1
		.amdhsa_reserve_flat_scratch 0
		.amdhsa_float_round_mode_32 0
		.amdhsa_float_round_mode_16_64 0
		.amdhsa_float_denorm_mode_32 3
		.amdhsa_float_denorm_mode_16_64 3
		.amdhsa_dx10_clamp 1
		.amdhsa_ieee_mode 1
		.amdhsa_fp16_overflow 0
		.amdhsa_exception_fp_ieee_invalid_op 0
		.amdhsa_exception_fp_denorm_src 0
		.amdhsa_exception_fp_ieee_div_zero 0
		.amdhsa_exception_fp_ieee_overflow 0
		.amdhsa_exception_fp_ieee_underflow 0
		.amdhsa_exception_fp_ieee_inexact 0
		.amdhsa_exception_int_div_zero 0
	.end_amdhsa_kernel
	.section	.text._ZN9rocsparseL20shift_offsets_kernelILj512EiiEEvT1_PKT0_PS2_,"axG",@progbits,_ZN9rocsparseL20shift_offsets_kernelILj512EiiEEvT1_PKT0_PS2_,comdat
.Lfunc_end1:
	.size	_ZN9rocsparseL20shift_offsets_kernelILj512EiiEEvT1_PKT0_PS2_, .Lfunc_end1-_ZN9rocsparseL20shift_offsets_kernelILj512EiiEEvT1_PKT0_PS2_
                                        ; -- End function
	.set _ZN9rocsparseL20shift_offsets_kernelILj512EiiEEvT1_PKT0_PS2_.num_vgpr, 4
	.set _ZN9rocsparseL20shift_offsets_kernelILj512EiiEEvT1_PKT0_PS2_.num_agpr, 0
	.set _ZN9rocsparseL20shift_offsets_kernelILj512EiiEEvT1_PKT0_PS2_.numbered_sgpr, 7
	.set _ZN9rocsparseL20shift_offsets_kernelILj512EiiEEvT1_PKT0_PS2_.num_named_barrier, 0
	.set _ZN9rocsparseL20shift_offsets_kernelILj512EiiEEvT1_PKT0_PS2_.private_seg_size, 0
	.set _ZN9rocsparseL20shift_offsets_kernelILj512EiiEEvT1_PKT0_PS2_.uses_vcc, 1
	.set _ZN9rocsparseL20shift_offsets_kernelILj512EiiEEvT1_PKT0_PS2_.uses_flat_scratch, 0
	.set _ZN9rocsparseL20shift_offsets_kernelILj512EiiEEvT1_PKT0_PS2_.has_dyn_sized_stack, 0
	.set _ZN9rocsparseL20shift_offsets_kernelILj512EiiEEvT1_PKT0_PS2_.has_recursion, 0
	.set _ZN9rocsparseL20shift_offsets_kernelILj512EiiEEvT1_PKT0_PS2_.has_indirect_call, 0
	.section	.AMDGPU.csdata,"",@progbits
; Kernel info:
; codeLenInByte = 116
; TotalNumSgprs: 11
; NumVgprs: 4
; ScratchSize: 0
; MemoryBound: 0
; FloatMode: 240
; IeeeMode: 1
; LDSByteSize: 0 bytes/workgroup (compile time only)
; SGPRBlocks: 1
; VGPRBlocks: 0
; NumSGPRsForWavesPerEU: 11
; NumVGPRsForWavesPerEU: 4
; Occupancy: 10
; WaveLimiterHint : 0
; COMPUTE_PGM_RSRC2:SCRATCH_EN: 0
; COMPUTE_PGM_RSRC2:USER_SGPR: 6
; COMPUTE_PGM_RSRC2:TRAP_HANDLER: 0
; COMPUTE_PGM_RSRC2:TGID_X_EN: 1
; COMPUTE_PGM_RSRC2:TGID_Y_EN: 0
; COMPUTE_PGM_RSRC2:TGID_Z_EN: 0
; COMPUTE_PGM_RSRC2:TIDIG_COMP_CNT: 0
	.section	.text._ZN9rocsparseL23check_matrix_csr_deviceILj256ELj4EfiiEEvT3_S1_T2_PKT1_PKS2_PKS1_S9_21rocsparse_index_base_22rocsparse_matrix_type_20rocsparse_fill_mode_23rocsparse_storage_mode_P22rocsparse_data_status_,"axG",@progbits,_ZN9rocsparseL23check_matrix_csr_deviceILj256ELj4EfiiEEvT3_S1_T2_PKT1_PKS2_PKS1_S9_21rocsparse_index_base_22rocsparse_matrix_type_20rocsparse_fill_mode_23rocsparse_storage_mode_P22rocsparse_data_status_,comdat
	.globl	_ZN9rocsparseL23check_matrix_csr_deviceILj256ELj4EfiiEEvT3_S1_T2_PKT1_PKS2_PKS1_S9_21rocsparse_index_base_22rocsparse_matrix_type_20rocsparse_fill_mode_23rocsparse_storage_mode_P22rocsparse_data_status_ ; -- Begin function _ZN9rocsparseL23check_matrix_csr_deviceILj256ELj4EfiiEEvT3_S1_T2_PKT1_PKS2_PKS1_S9_21rocsparse_index_base_22rocsparse_matrix_type_20rocsparse_fill_mode_23rocsparse_storage_mode_P22rocsparse_data_status_
	.p2align	8
	.type	_ZN9rocsparseL23check_matrix_csr_deviceILj256ELj4EfiiEEvT3_S1_T2_PKT1_PKS2_PKS1_S9_21rocsparse_index_base_22rocsparse_matrix_type_20rocsparse_fill_mode_23rocsparse_storage_mode_P22rocsparse_data_status_,@function
_ZN9rocsparseL23check_matrix_csr_deviceILj256ELj4EfiiEEvT3_S1_T2_PKT1_PKS2_PKS1_S9_21rocsparse_index_base_22rocsparse_matrix_type_20rocsparse_fill_mode_23rocsparse_storage_mode_P22rocsparse_data_status_: ; @_ZN9rocsparseL23check_matrix_csr_deviceILj256ELj4EfiiEEvT3_S1_T2_PKT1_PKS2_PKS1_S9_21rocsparse_index_base_22rocsparse_matrix_type_20rocsparse_fill_mode_23rocsparse_storage_mode_P22rocsparse_data_status_
; %bb.0:
	s_load_dwordx2 s[16:17], s[4:5], 0x0
	v_lshl_or_b32 v1, s6, 8, v0
	v_lshrrev_b32_e32 v5, 2, v1
	s_waitcnt lgkmcnt(0)
	v_cmp_gt_i32_e32 vcc, s16, v5
	s_and_saveexec_b64 s[0:1], vcc
	s_cbranch_execz .LBB2_31
; %bb.1:
	s_load_dwordx2 s[0:1], s[4:5], 0x18
	v_lshlrev_b32_e32 v1, 2, v5
	s_mov_b64 s[8:9], -1
	v_mov_b32_e32 v9, 3
	s_waitcnt lgkmcnt(0)
	global_load_dwordx2 v[1:2], v1, s[0:1]
	s_load_dword s0, s[0:1], 0x0
	s_waitcnt vmcnt(0) lgkmcnt(0)
	v_subrev_u32_e32 v7, s0, v2
	v_cmp_lt_i32_e32 vcc, v2, v1
	v_cmp_gt_i32_e64 s[2:3], 0, v7
	v_subrev_u32_e32 v6, s0, v1
	s_or_b64 s[2:3], s[2:3], vcc
	v_cmp_lt_i32_e64 s[0:1], -1, v6
	s_xor_b64 s[2:3], s[2:3], -1
	s_and_b64 s[0:1], s[0:1], s[2:3]
	s_and_saveexec_b64 s[6:7], s[0:1]
	s_cbranch_execz .LBB2_29
; %bb.2:
	v_and_b32_e32 v0, 3, v0
	v_add_u32_e32 v0, v6, v0
	v_mov_b32_e32 v9, 3
	v_cmp_lt_u32_e32 vcc, v0, v7
	s_mov_b64 s[0:1], 0
	s_and_saveexec_b64 s[18:19], vcc
	s_cbranch_execz .LBB2_28
; %bb.3:
	s_load_dwordx8 s[8:15], s[4:5], 0x20
	s_load_dwordx2 s[20:21], s[4:5], 0x10
	s_mov_b64 s[22:23], 0
                                        ; implicit-def: $sgpr28_sgpr29
                                        ; implicit-def: $sgpr30_sgpr31
                                        ; implicit-def: $sgpr34_sgpr35
	s_waitcnt lgkmcnt(0)
	s_cmp_lg_u32 s13, 0
	s_cselect_b64 s[24:25], -1, 0
	s_cmp_lg_u32 s14, 0
	s_cselect_b64 s[26:27], -1, 0
	;; [unrolled: 2-line block ×3, first 2 shown]
	v_mov_b32_e32 v8, s9
	s_mov_b32 s9, 0x7f800000
	s_branch .LBB2_10
.LBB2_4:                                ;   in Loop: Header=BB2_10 Depth=1
	s_or_b64 exec, exec, s[48:49]
	s_orn2_b64 s[48:49], s[2:3], exec
	s_orn2_b64 s[0:1], s[42:43], exec
.LBB2_5:                                ;   in Loop: Header=BB2_10 Depth=1
	s_or_b64 exec, exec, s[46:47]
	s_orn2_b64 s[2:3], s[48:49], exec
	s_orn2_b64 s[0:1], s[0:1], exec
.LBB2_6:                                ;   in Loop: Header=BB2_10 Depth=1
	s_or_b64 exec, exec, s[44:45]
	s_orn2_b64 s[2:3], s[2:3], exec
	s_orn2_b64 s[0:1], s[0:1], exec
.LBB2_7:                                ;   in Loop: Header=BB2_10 Depth=1
	s_or_b64 exec, exec, s[40:41]
	s_orn2_b64 s[2:3], s[2:3], exec
	s_orn2_b64 s[0:1], s[0:1], exec
.LBB2_8:                                ;   in Loop: Header=BB2_10 Depth=1
	s_or_b64 exec, exec, s[38:39]
	s_andn2_b64 s[34:35], s[34:35], exec
	s_and_b64 s[2:3], s[2:3], exec
	s_or_b64 s[34:35], s[34:35], s[2:3]
	s_andn2_b64 s[2:3], s[30:31], exec
	s_and_b64 s[0:1], s[0:1], exec
	s_or_b64 s[30:31], s[2:3], s[0:1]
.LBB2_9:                                ;   in Loop: Header=BB2_10 Depth=1
	s_or_b64 exec, exec, s[36:37]
	s_and_b64 s[0:1], exec, s[30:31]
	s_or_b64 s[22:23], s[0:1], s[22:23]
	s_andn2_b64 s[0:1], s[28:29], exec
	s_and_b64 s[2:3], s[34:35], exec
	s_or_b64 s[28:29], s[0:1], s[2:3]
	s_andn2_b64 exec, exec, s[22:23]
	s_cbranch_execz .LBB2_27
.LBB2_10:                               ; =>This Inner Loop Header: Depth=1
	v_ashrrev_i32_e32 v1, 31, v0
	v_lshlrev_b64 v[3:4], 2, v[0:1]
	v_mov_b32_e32 v9, 4
	v_add_co_u32_e32 v1, vcc, s8, v3
	v_addc_co_u32_e32 v2, vcc, v8, v4, vcc
	global_load_dword v10, v[1:2], off
	s_or_b64 s[34:35], s[34:35], exec
	s_or_b64 s[30:31], s[30:31], exec
	s_waitcnt vmcnt(0)
	v_subrev_u32_e32 v11, s12, v10
	v_cmp_lt_i32_e32 vcc, -1, v11
	v_cmp_gt_i32_e64 s[0:1], s17, v11
	s_and_b64 s[0:1], vcc, s[0:1]
	s_and_saveexec_b64 s[36:37], s[0:1]
	s_cbranch_execz .LBB2_9
; %bb.11:                               ;   in Loop: Header=BB2_10 Depth=1
	v_cmp_le_i32_e64 s[42:43], v0, v6
	v_cmp_gt_i32_e32 vcc, v0, v6
	v_mov_b32_e32 v9, 4
	s_mov_b64 s[40:41], s[42:43]
	s_and_saveexec_b64 s[38:39], vcc
	s_cbranch_execz .LBB2_13
; %bb.12:                               ;   in Loop: Header=BB2_10 Depth=1
	v_mov_b32_e32 v9, s11
	v_add_co_u32_e32 v12, vcc, s10, v3
	v_addc_co_u32_e32 v13, vcc, v9, v4, vcc
	global_load_dwordx2 v[12:13], v[12:13], off offset:-4
	v_mov_b32_e32 v9, 5
	s_waitcnt vmcnt(0)
	v_subrev_u32_e32 v14, s12, v12
	v_cmp_lt_i32_e64 s[0:1], -1, v14
	v_cmp_gt_i32_e64 s[2:3], s17, v14
	s_and_b64 s[0:1], s[0:1], s[2:3]
	v_cmp_ne_u32_e32 vcc, v13, v12
	s_xor_b64 s[0:1], s[0:1], -1
	s_or_b64 s[0:1], vcc, s[0:1]
	s_andn2_b64 s[2:3], s[42:43], exec
	s_and_b64 s[0:1], s[0:1], exec
	s_or_b64 s[40:41], s[2:3], s[0:1]
.LBB2_13:                               ;   in Loop: Header=BB2_10 Depth=1
	s_or_b64 exec, exec, s[38:39]
	s_mov_b64 s[0:1], -1
	s_mov_b64 s[2:3], -1
	s_and_saveexec_b64 s[38:39], s[40:41]
	s_cbranch_execz .LBB2_8
; %bb.14:                               ;   in Loop: Header=BB2_10 Depth=1
	v_mov_b32_e32 v9, s21
	v_add_co_u32_e32 v3, vcc, s20, v3
	v_addc_co_u32_e32 v4, vcc, v9, v4, vcc
	global_load_dword v3, v[3:4], off
	v_mov_b32_e32 v9, 1
	s_waitcnt vmcnt(0)
	v_cmp_neq_f32_e32 vcc, s9, v3
	s_and_saveexec_b64 s[40:41], vcc
	s_cbranch_execz .LBB2_7
; %bb.15:                               ;   in Loop: Header=BB2_10 Depth=1
	v_cmp_o_f32_e32 vcc, v3, v3
	v_mov_b32_e32 v9, 2
	s_and_saveexec_b64 s[44:45], vcc
	s_cbranch_execz .LBB2_6
; %bb.16:                               ;   in Loop: Header=BB2_10 Depth=1
	s_and_b64 vcc, exec, s[24:25]
	s_cbranch_vccz .LBB2_19
; %bb.17:                               ;   in Loop: Header=BB2_10 Depth=1
	s_and_b64 vcc, exec, s[26:27]
	s_cbranch_vccz .LBB2_20
; %bb.18:                               ;   in Loop: Header=BB2_10 Depth=1
	v_cmp_le_i32_e32 vcc, v5, v11
	s_mov_b32 s13, 7
	s_and_b64 s[2:3], vcc, exec
	s_cbranch_execz .LBB2_21
	s_branch .LBB2_22
.LBB2_19:                               ;   in Loop: Header=BB2_10 Depth=1
	s_mov_b32 s13, 2
	s_branch .LBB2_22
.LBB2_20:                               ;   in Loop: Header=BB2_10 Depth=1
	s_mov_b64 s[2:3], 0
	s_mov_b32 s13, 2
.LBB2_21:                               ;   in Loop: Header=BB2_10 Depth=1
	v_cmp_ge_i32_e32 vcc, v5, v11
	s_andn2_b64 s[2:3], s[2:3], exec
	s_and_b64 s[46:47], vcc, exec
	s_mov_b32 s13, 7
	s_or_b64 s[2:3], s[2:3], s[46:47]
.LBB2_22:                               ;   in Loop: Header=BB2_10 Depth=1
	v_mov_b32_e32 v9, s13
	s_mov_b64 s[48:49], -1
	s_and_saveexec_b64 s[46:47], s[2:3]
	s_cbranch_execz .LBB2_5
; %bb.23:                               ;   in Loop: Header=BB2_10 Depth=1
	s_nor_b64 s[2:3], s[14:15], s[42:43]
	s_mov_b64 s[42:43], -1
	v_mov_b32_e32 v9, s13
	s_and_saveexec_b64 s[48:49], s[2:3]
	s_cbranch_execz .LBB2_25
; %bb.24:                               ;   in Loop: Header=BB2_10 Depth=1
	global_load_dword v1, v[1:2], off offset:-4
	v_mov_b32_e32 v9, 6
	s_waitcnt vmcnt(0)
	v_subrev_u32_e32 v2, s12, v1
	v_cmp_lt_i32_e64 s[0:1], -1, v2
	v_cmp_gt_i32_e64 s[2:3], s17, v2
	s_and_b64 s[0:1], s[0:1], s[2:3]
	v_cmp_gt_i32_e32 vcc, v10, v1
	s_xor_b64 s[0:1], s[0:1], -1
	s_or_b64 s[0:1], vcc, s[0:1]
	s_orn2_b64 s[0:1], s[0:1], exec
.LBB2_25:                               ;   in Loop: Header=BB2_10 Depth=1
	s_or_b64 exec, exec, s[48:49]
	s_mov_b64 s[2:3], -1
	s_and_saveexec_b64 s[48:49], s[0:1]
	s_cbranch_execz .LBB2_4
; %bb.26:                               ;   in Loop: Header=BB2_10 Depth=1
	v_add_u32_e32 v0, 4, v0
	v_cmp_ge_i32_e32 vcc, v0, v7
	s_xor_b64 s[2:3], exec, -1
	s_orn2_b64 s[42:43], vcc, exec
	s_branch .LBB2_4
.LBB2_27:
	s_or_b64 exec, exec, s[22:23]
	s_and_b64 s[0:1], s[28:29], exec
.LBB2_28:
	s_or_b64 exec, exec, s[18:19]
	s_orn2_b64 s[8:9], s[0:1], exec
.LBB2_29:
	s_or_b64 exec, exec, s[6:7]
	s_and_b64 exec, exec, s[8:9]
	s_cbranch_execz .LBB2_31
; %bb.30:
	s_load_dwordx2 s[0:1], s[4:5], 0x40
	v_mov_b32_e32 v0, 0
	s_waitcnt lgkmcnt(0)
	global_store_dword v0, v9, s[0:1]
.LBB2_31:
	s_endpgm
	.section	.rodata,"a",@progbits
	.p2align	6, 0x0
	.amdhsa_kernel _ZN9rocsparseL23check_matrix_csr_deviceILj256ELj4EfiiEEvT3_S1_T2_PKT1_PKS2_PKS1_S9_21rocsparse_index_base_22rocsparse_matrix_type_20rocsparse_fill_mode_23rocsparse_storage_mode_P22rocsparse_data_status_
		.amdhsa_group_segment_fixed_size 0
		.amdhsa_private_segment_fixed_size 0
		.amdhsa_kernarg_size 72
		.amdhsa_user_sgpr_count 6
		.amdhsa_user_sgpr_private_segment_buffer 1
		.amdhsa_user_sgpr_dispatch_ptr 0
		.amdhsa_user_sgpr_queue_ptr 0
		.amdhsa_user_sgpr_kernarg_segment_ptr 1
		.amdhsa_user_sgpr_dispatch_id 0
		.amdhsa_user_sgpr_flat_scratch_init 0
		.amdhsa_user_sgpr_private_segment_size 0
		.amdhsa_uses_dynamic_stack 0
		.amdhsa_system_sgpr_private_segment_wavefront_offset 0
		.amdhsa_system_sgpr_workgroup_id_x 1
		.amdhsa_system_sgpr_workgroup_id_y 0
		.amdhsa_system_sgpr_workgroup_id_z 0
		.amdhsa_system_sgpr_workgroup_info 0
		.amdhsa_system_vgpr_workitem_id 0
		.amdhsa_next_free_vgpr 15
		.amdhsa_next_free_sgpr 50
		.amdhsa_reserve_vcc 1
		.amdhsa_reserve_flat_scratch 0
		.amdhsa_float_round_mode_32 0
		.amdhsa_float_round_mode_16_64 0
		.amdhsa_float_denorm_mode_32 3
		.amdhsa_float_denorm_mode_16_64 3
		.amdhsa_dx10_clamp 1
		.amdhsa_ieee_mode 1
		.amdhsa_fp16_overflow 0
		.amdhsa_exception_fp_ieee_invalid_op 0
		.amdhsa_exception_fp_denorm_src 0
		.amdhsa_exception_fp_ieee_div_zero 0
		.amdhsa_exception_fp_ieee_overflow 0
		.amdhsa_exception_fp_ieee_underflow 0
		.amdhsa_exception_fp_ieee_inexact 0
		.amdhsa_exception_int_div_zero 0
	.end_amdhsa_kernel
	.section	.text._ZN9rocsparseL23check_matrix_csr_deviceILj256ELj4EfiiEEvT3_S1_T2_PKT1_PKS2_PKS1_S9_21rocsparse_index_base_22rocsparse_matrix_type_20rocsparse_fill_mode_23rocsparse_storage_mode_P22rocsparse_data_status_,"axG",@progbits,_ZN9rocsparseL23check_matrix_csr_deviceILj256ELj4EfiiEEvT3_S1_T2_PKT1_PKS2_PKS1_S9_21rocsparse_index_base_22rocsparse_matrix_type_20rocsparse_fill_mode_23rocsparse_storage_mode_P22rocsparse_data_status_,comdat
.Lfunc_end2:
	.size	_ZN9rocsparseL23check_matrix_csr_deviceILj256ELj4EfiiEEvT3_S1_T2_PKT1_PKS2_PKS1_S9_21rocsparse_index_base_22rocsparse_matrix_type_20rocsparse_fill_mode_23rocsparse_storage_mode_P22rocsparse_data_status_, .Lfunc_end2-_ZN9rocsparseL23check_matrix_csr_deviceILj256ELj4EfiiEEvT3_S1_T2_PKT1_PKS2_PKS1_S9_21rocsparse_index_base_22rocsparse_matrix_type_20rocsparse_fill_mode_23rocsparse_storage_mode_P22rocsparse_data_status_
                                        ; -- End function
	.set _ZN9rocsparseL23check_matrix_csr_deviceILj256ELj4EfiiEEvT3_S1_T2_PKT1_PKS2_PKS1_S9_21rocsparse_index_base_22rocsparse_matrix_type_20rocsparse_fill_mode_23rocsparse_storage_mode_P22rocsparse_data_status_.num_vgpr, 15
	.set _ZN9rocsparseL23check_matrix_csr_deviceILj256ELj4EfiiEEvT3_S1_T2_PKT1_PKS2_PKS1_S9_21rocsparse_index_base_22rocsparse_matrix_type_20rocsparse_fill_mode_23rocsparse_storage_mode_P22rocsparse_data_status_.num_agpr, 0
	.set _ZN9rocsparseL23check_matrix_csr_deviceILj256ELj4EfiiEEvT3_S1_T2_PKT1_PKS2_PKS1_S9_21rocsparse_index_base_22rocsparse_matrix_type_20rocsparse_fill_mode_23rocsparse_storage_mode_P22rocsparse_data_status_.numbered_sgpr, 50
	.set _ZN9rocsparseL23check_matrix_csr_deviceILj256ELj4EfiiEEvT3_S1_T2_PKT1_PKS2_PKS1_S9_21rocsparse_index_base_22rocsparse_matrix_type_20rocsparse_fill_mode_23rocsparse_storage_mode_P22rocsparse_data_status_.num_named_barrier, 0
	.set _ZN9rocsparseL23check_matrix_csr_deviceILj256ELj4EfiiEEvT3_S1_T2_PKT1_PKS2_PKS1_S9_21rocsparse_index_base_22rocsparse_matrix_type_20rocsparse_fill_mode_23rocsparse_storage_mode_P22rocsparse_data_status_.private_seg_size, 0
	.set _ZN9rocsparseL23check_matrix_csr_deviceILj256ELj4EfiiEEvT3_S1_T2_PKT1_PKS2_PKS1_S9_21rocsparse_index_base_22rocsparse_matrix_type_20rocsparse_fill_mode_23rocsparse_storage_mode_P22rocsparse_data_status_.uses_vcc, 1
	.set _ZN9rocsparseL23check_matrix_csr_deviceILj256ELj4EfiiEEvT3_S1_T2_PKT1_PKS2_PKS1_S9_21rocsparse_index_base_22rocsparse_matrix_type_20rocsparse_fill_mode_23rocsparse_storage_mode_P22rocsparse_data_status_.uses_flat_scratch, 0
	.set _ZN9rocsparseL23check_matrix_csr_deviceILj256ELj4EfiiEEvT3_S1_T2_PKT1_PKS2_PKS1_S9_21rocsparse_index_base_22rocsparse_matrix_type_20rocsparse_fill_mode_23rocsparse_storage_mode_P22rocsparse_data_status_.has_dyn_sized_stack, 0
	.set _ZN9rocsparseL23check_matrix_csr_deviceILj256ELj4EfiiEEvT3_S1_T2_PKT1_PKS2_PKS1_S9_21rocsparse_index_base_22rocsparse_matrix_type_20rocsparse_fill_mode_23rocsparse_storage_mode_P22rocsparse_data_status_.has_recursion, 0
	.set _ZN9rocsparseL23check_matrix_csr_deviceILj256ELj4EfiiEEvT3_S1_T2_PKT1_PKS2_PKS1_S9_21rocsparse_index_base_22rocsparse_matrix_type_20rocsparse_fill_mode_23rocsparse_storage_mode_P22rocsparse_data_status_.has_indirect_call, 0
	.section	.AMDGPU.csdata,"",@progbits
; Kernel info:
; codeLenInByte = 836
; TotalNumSgprs: 54
; NumVgprs: 15
; ScratchSize: 0
; MemoryBound: 0
; FloatMode: 240
; IeeeMode: 1
; LDSByteSize: 0 bytes/workgroup (compile time only)
; SGPRBlocks: 6
; VGPRBlocks: 3
; NumSGPRsForWavesPerEU: 54
; NumVGPRsForWavesPerEU: 15
; Occupancy: 10
; WaveLimiterHint : 0
; COMPUTE_PGM_RSRC2:SCRATCH_EN: 0
; COMPUTE_PGM_RSRC2:USER_SGPR: 6
; COMPUTE_PGM_RSRC2:TRAP_HANDLER: 0
; COMPUTE_PGM_RSRC2:TGID_X_EN: 1
; COMPUTE_PGM_RSRC2:TGID_Y_EN: 0
; COMPUTE_PGM_RSRC2:TGID_Z_EN: 0
; COMPUTE_PGM_RSRC2:TIDIG_COMP_CNT: 0
	.section	.text._ZN9rocsparseL23check_matrix_csr_deviceILj256ELj8EfiiEEvT3_S1_T2_PKT1_PKS2_PKS1_S9_21rocsparse_index_base_22rocsparse_matrix_type_20rocsparse_fill_mode_23rocsparse_storage_mode_P22rocsparse_data_status_,"axG",@progbits,_ZN9rocsparseL23check_matrix_csr_deviceILj256ELj8EfiiEEvT3_S1_T2_PKT1_PKS2_PKS1_S9_21rocsparse_index_base_22rocsparse_matrix_type_20rocsparse_fill_mode_23rocsparse_storage_mode_P22rocsparse_data_status_,comdat
	.globl	_ZN9rocsparseL23check_matrix_csr_deviceILj256ELj8EfiiEEvT3_S1_T2_PKT1_PKS2_PKS1_S9_21rocsparse_index_base_22rocsparse_matrix_type_20rocsparse_fill_mode_23rocsparse_storage_mode_P22rocsparse_data_status_ ; -- Begin function _ZN9rocsparseL23check_matrix_csr_deviceILj256ELj8EfiiEEvT3_S1_T2_PKT1_PKS2_PKS1_S9_21rocsparse_index_base_22rocsparse_matrix_type_20rocsparse_fill_mode_23rocsparse_storage_mode_P22rocsparse_data_status_
	.p2align	8
	.type	_ZN9rocsparseL23check_matrix_csr_deviceILj256ELj8EfiiEEvT3_S1_T2_PKT1_PKS2_PKS1_S9_21rocsparse_index_base_22rocsparse_matrix_type_20rocsparse_fill_mode_23rocsparse_storage_mode_P22rocsparse_data_status_,@function
_ZN9rocsparseL23check_matrix_csr_deviceILj256ELj8EfiiEEvT3_S1_T2_PKT1_PKS2_PKS1_S9_21rocsparse_index_base_22rocsparse_matrix_type_20rocsparse_fill_mode_23rocsparse_storage_mode_P22rocsparse_data_status_: ; @_ZN9rocsparseL23check_matrix_csr_deviceILj256ELj8EfiiEEvT3_S1_T2_PKT1_PKS2_PKS1_S9_21rocsparse_index_base_22rocsparse_matrix_type_20rocsparse_fill_mode_23rocsparse_storage_mode_P22rocsparse_data_status_
; %bb.0:
	s_load_dwordx2 s[16:17], s[4:5], 0x0
	v_lshl_or_b32 v1, s6, 8, v0
	v_lshrrev_b32_e32 v5, 3, v1
	s_waitcnt lgkmcnt(0)
	v_cmp_gt_i32_e32 vcc, s16, v5
	s_and_saveexec_b64 s[0:1], vcc
	s_cbranch_execz .LBB3_31
; %bb.1:
	s_load_dwordx2 s[0:1], s[4:5], 0x18
	v_lshlrev_b32_e32 v1, 2, v5
	s_mov_b64 s[8:9], -1
	v_mov_b32_e32 v9, 3
	s_waitcnt lgkmcnt(0)
	global_load_dwordx2 v[1:2], v1, s[0:1]
	s_load_dword s0, s[0:1], 0x0
	s_waitcnt vmcnt(0) lgkmcnt(0)
	v_subrev_u32_e32 v7, s0, v2
	v_cmp_lt_i32_e32 vcc, v2, v1
	v_cmp_gt_i32_e64 s[2:3], 0, v7
	v_subrev_u32_e32 v6, s0, v1
	s_or_b64 s[2:3], s[2:3], vcc
	v_cmp_lt_i32_e64 s[0:1], -1, v6
	s_xor_b64 s[2:3], s[2:3], -1
	s_and_b64 s[0:1], s[0:1], s[2:3]
	s_and_saveexec_b64 s[6:7], s[0:1]
	s_cbranch_execz .LBB3_29
; %bb.2:
	v_and_b32_e32 v0, 7, v0
	v_add_u32_e32 v0, v6, v0
	v_cmp_lt_u32_e32 vcc, v0, v7
	s_mov_b64 s[0:1], 0
	v_mov_b32_e32 v9, 3
	s_and_saveexec_b64 s[18:19], vcc
	s_cbranch_execz .LBB3_28
; %bb.3:
	s_load_dwordx8 s[8:15], s[4:5], 0x20
	s_load_dwordx2 s[20:21], s[4:5], 0x10
	s_mov_b64 s[22:23], 0
                                        ; implicit-def: $sgpr28_sgpr29
                                        ; implicit-def: $sgpr30_sgpr31
                                        ; implicit-def: $sgpr34_sgpr35
	s_waitcnt lgkmcnt(0)
	s_cmp_lg_u32 s13, 0
	s_cselect_b64 s[24:25], -1, 0
	s_cmp_lg_u32 s14, 0
	s_cselect_b64 s[26:27], -1, 0
	;; [unrolled: 2-line block ×3, first 2 shown]
	v_mov_b32_e32 v8, s9
	s_mov_b32 s9, 0x7f800000
	s_branch .LBB3_10
.LBB3_4:                                ;   in Loop: Header=BB3_10 Depth=1
	s_or_b64 exec, exec, s[48:49]
	s_orn2_b64 s[48:49], s[2:3], exec
	s_orn2_b64 s[0:1], s[42:43], exec
.LBB3_5:                                ;   in Loop: Header=BB3_10 Depth=1
	s_or_b64 exec, exec, s[46:47]
	s_orn2_b64 s[2:3], s[48:49], exec
	s_orn2_b64 s[0:1], s[0:1], exec
.LBB3_6:                                ;   in Loop: Header=BB3_10 Depth=1
	s_or_b64 exec, exec, s[44:45]
	s_orn2_b64 s[2:3], s[2:3], exec
	s_orn2_b64 s[0:1], s[0:1], exec
.LBB3_7:                                ;   in Loop: Header=BB3_10 Depth=1
	s_or_b64 exec, exec, s[40:41]
	s_orn2_b64 s[2:3], s[2:3], exec
	s_orn2_b64 s[0:1], s[0:1], exec
.LBB3_8:                                ;   in Loop: Header=BB3_10 Depth=1
	s_or_b64 exec, exec, s[38:39]
	s_andn2_b64 s[34:35], s[34:35], exec
	s_and_b64 s[2:3], s[2:3], exec
	s_or_b64 s[34:35], s[34:35], s[2:3]
	s_andn2_b64 s[2:3], s[30:31], exec
	s_and_b64 s[0:1], s[0:1], exec
	s_or_b64 s[30:31], s[2:3], s[0:1]
.LBB3_9:                                ;   in Loop: Header=BB3_10 Depth=1
	s_or_b64 exec, exec, s[36:37]
	s_and_b64 s[0:1], exec, s[30:31]
	s_or_b64 s[22:23], s[0:1], s[22:23]
	s_andn2_b64 s[0:1], s[28:29], exec
	s_and_b64 s[2:3], s[34:35], exec
	s_or_b64 s[28:29], s[0:1], s[2:3]
	s_andn2_b64 exec, exec, s[22:23]
	s_cbranch_execz .LBB3_27
.LBB3_10:                               ; =>This Inner Loop Header: Depth=1
	v_ashrrev_i32_e32 v1, 31, v0
	v_lshlrev_b64 v[3:4], 2, v[0:1]
	v_mov_b32_e32 v9, 4
	v_add_co_u32_e32 v1, vcc, s8, v3
	v_addc_co_u32_e32 v2, vcc, v8, v4, vcc
	global_load_dword v10, v[1:2], off
	s_or_b64 s[34:35], s[34:35], exec
	s_or_b64 s[30:31], s[30:31], exec
	s_waitcnt vmcnt(0)
	v_subrev_u32_e32 v11, s12, v10
	v_cmp_lt_i32_e32 vcc, -1, v11
	v_cmp_gt_i32_e64 s[0:1], s17, v11
	s_and_b64 s[0:1], vcc, s[0:1]
	s_and_saveexec_b64 s[36:37], s[0:1]
	s_cbranch_execz .LBB3_9
; %bb.11:                               ;   in Loop: Header=BB3_10 Depth=1
	v_cmp_le_i32_e64 s[42:43], v0, v6
	v_cmp_gt_i32_e32 vcc, v0, v6
	v_mov_b32_e32 v9, 4
	s_mov_b64 s[40:41], s[42:43]
	s_and_saveexec_b64 s[38:39], vcc
	s_cbranch_execz .LBB3_13
; %bb.12:                               ;   in Loop: Header=BB3_10 Depth=1
	v_mov_b32_e32 v9, s11
	v_add_co_u32_e32 v12, vcc, s10, v3
	v_addc_co_u32_e32 v13, vcc, v9, v4, vcc
	global_load_dwordx2 v[12:13], v[12:13], off offset:-4
	v_mov_b32_e32 v9, 5
	s_waitcnt vmcnt(0)
	v_subrev_u32_e32 v14, s12, v12
	v_cmp_lt_i32_e64 s[0:1], -1, v14
	v_cmp_gt_i32_e64 s[2:3], s17, v14
	s_and_b64 s[0:1], s[0:1], s[2:3]
	v_cmp_ne_u32_e32 vcc, v13, v12
	s_xor_b64 s[0:1], s[0:1], -1
	s_or_b64 s[0:1], vcc, s[0:1]
	s_andn2_b64 s[2:3], s[42:43], exec
	s_and_b64 s[0:1], s[0:1], exec
	s_or_b64 s[40:41], s[2:3], s[0:1]
.LBB3_13:                               ;   in Loop: Header=BB3_10 Depth=1
	s_or_b64 exec, exec, s[38:39]
	s_mov_b64 s[0:1], -1
	s_mov_b64 s[2:3], -1
	s_and_saveexec_b64 s[38:39], s[40:41]
	s_cbranch_execz .LBB3_8
; %bb.14:                               ;   in Loop: Header=BB3_10 Depth=1
	v_mov_b32_e32 v9, s21
	v_add_co_u32_e32 v3, vcc, s20, v3
	v_addc_co_u32_e32 v4, vcc, v9, v4, vcc
	global_load_dword v3, v[3:4], off
	v_mov_b32_e32 v9, 1
	s_waitcnt vmcnt(0)
	v_cmp_neq_f32_e32 vcc, s9, v3
	s_and_saveexec_b64 s[40:41], vcc
	s_cbranch_execz .LBB3_7
; %bb.15:                               ;   in Loop: Header=BB3_10 Depth=1
	v_cmp_o_f32_e32 vcc, v3, v3
	v_mov_b32_e32 v9, 2
	s_and_saveexec_b64 s[44:45], vcc
	s_cbranch_execz .LBB3_6
; %bb.16:                               ;   in Loop: Header=BB3_10 Depth=1
	s_and_b64 vcc, exec, s[24:25]
	s_cbranch_vccz .LBB3_19
; %bb.17:                               ;   in Loop: Header=BB3_10 Depth=1
	s_and_b64 vcc, exec, s[26:27]
	s_cbranch_vccz .LBB3_20
; %bb.18:                               ;   in Loop: Header=BB3_10 Depth=1
	v_cmp_le_i32_e32 vcc, v5, v11
	s_mov_b32 s13, 7
	s_and_b64 s[2:3], vcc, exec
	s_cbranch_execz .LBB3_21
	s_branch .LBB3_22
.LBB3_19:                               ;   in Loop: Header=BB3_10 Depth=1
	s_mov_b32 s13, 2
	s_branch .LBB3_22
.LBB3_20:                               ;   in Loop: Header=BB3_10 Depth=1
	s_mov_b64 s[2:3], 0
	s_mov_b32 s13, 2
.LBB3_21:                               ;   in Loop: Header=BB3_10 Depth=1
	v_cmp_ge_i32_e32 vcc, v5, v11
	s_andn2_b64 s[2:3], s[2:3], exec
	s_and_b64 s[46:47], vcc, exec
	s_mov_b32 s13, 7
	s_or_b64 s[2:3], s[2:3], s[46:47]
.LBB3_22:                               ;   in Loop: Header=BB3_10 Depth=1
	v_mov_b32_e32 v9, s13
	s_mov_b64 s[48:49], -1
	s_and_saveexec_b64 s[46:47], s[2:3]
	s_cbranch_execz .LBB3_5
; %bb.23:                               ;   in Loop: Header=BB3_10 Depth=1
	s_nor_b64 s[2:3], s[14:15], s[42:43]
	s_mov_b64 s[42:43], -1
	v_mov_b32_e32 v9, s13
	s_and_saveexec_b64 s[48:49], s[2:3]
	s_cbranch_execz .LBB3_25
; %bb.24:                               ;   in Loop: Header=BB3_10 Depth=1
	global_load_dword v1, v[1:2], off offset:-4
	v_mov_b32_e32 v9, 6
	s_waitcnt vmcnt(0)
	v_subrev_u32_e32 v2, s12, v1
	v_cmp_lt_i32_e64 s[0:1], -1, v2
	v_cmp_gt_i32_e64 s[2:3], s17, v2
	s_and_b64 s[0:1], s[0:1], s[2:3]
	v_cmp_gt_i32_e32 vcc, v10, v1
	s_xor_b64 s[0:1], s[0:1], -1
	s_or_b64 s[0:1], vcc, s[0:1]
	s_orn2_b64 s[0:1], s[0:1], exec
.LBB3_25:                               ;   in Loop: Header=BB3_10 Depth=1
	s_or_b64 exec, exec, s[48:49]
	s_mov_b64 s[2:3], -1
	s_and_saveexec_b64 s[48:49], s[0:1]
	s_cbranch_execz .LBB3_4
; %bb.26:                               ;   in Loop: Header=BB3_10 Depth=1
	v_add_u32_e32 v0, 8, v0
	v_cmp_ge_i32_e32 vcc, v0, v7
	s_xor_b64 s[2:3], exec, -1
	s_orn2_b64 s[42:43], vcc, exec
	s_branch .LBB3_4
.LBB3_27:
	s_or_b64 exec, exec, s[22:23]
	s_and_b64 s[0:1], s[28:29], exec
.LBB3_28:
	s_or_b64 exec, exec, s[18:19]
	s_orn2_b64 s[8:9], s[0:1], exec
.LBB3_29:
	s_or_b64 exec, exec, s[6:7]
	s_and_b64 exec, exec, s[8:9]
	s_cbranch_execz .LBB3_31
; %bb.30:
	s_load_dwordx2 s[0:1], s[4:5], 0x40
	v_mov_b32_e32 v0, 0
	s_waitcnt lgkmcnt(0)
	global_store_dword v0, v9, s[0:1]
.LBB3_31:
	s_endpgm
	.section	.rodata,"a",@progbits
	.p2align	6, 0x0
	.amdhsa_kernel _ZN9rocsparseL23check_matrix_csr_deviceILj256ELj8EfiiEEvT3_S1_T2_PKT1_PKS2_PKS1_S9_21rocsparse_index_base_22rocsparse_matrix_type_20rocsparse_fill_mode_23rocsparse_storage_mode_P22rocsparse_data_status_
		.amdhsa_group_segment_fixed_size 0
		.amdhsa_private_segment_fixed_size 0
		.amdhsa_kernarg_size 72
		.amdhsa_user_sgpr_count 6
		.amdhsa_user_sgpr_private_segment_buffer 1
		.amdhsa_user_sgpr_dispatch_ptr 0
		.amdhsa_user_sgpr_queue_ptr 0
		.amdhsa_user_sgpr_kernarg_segment_ptr 1
		.amdhsa_user_sgpr_dispatch_id 0
		.amdhsa_user_sgpr_flat_scratch_init 0
		.amdhsa_user_sgpr_private_segment_size 0
		.amdhsa_uses_dynamic_stack 0
		.amdhsa_system_sgpr_private_segment_wavefront_offset 0
		.amdhsa_system_sgpr_workgroup_id_x 1
		.amdhsa_system_sgpr_workgroup_id_y 0
		.amdhsa_system_sgpr_workgroup_id_z 0
		.amdhsa_system_sgpr_workgroup_info 0
		.amdhsa_system_vgpr_workitem_id 0
		.amdhsa_next_free_vgpr 15
		.amdhsa_next_free_sgpr 50
		.amdhsa_reserve_vcc 1
		.amdhsa_reserve_flat_scratch 0
		.amdhsa_float_round_mode_32 0
		.amdhsa_float_round_mode_16_64 0
		.amdhsa_float_denorm_mode_32 3
		.amdhsa_float_denorm_mode_16_64 3
		.amdhsa_dx10_clamp 1
		.amdhsa_ieee_mode 1
		.amdhsa_fp16_overflow 0
		.amdhsa_exception_fp_ieee_invalid_op 0
		.amdhsa_exception_fp_denorm_src 0
		.amdhsa_exception_fp_ieee_div_zero 0
		.amdhsa_exception_fp_ieee_overflow 0
		.amdhsa_exception_fp_ieee_underflow 0
		.amdhsa_exception_fp_ieee_inexact 0
		.amdhsa_exception_int_div_zero 0
	.end_amdhsa_kernel
	.section	.text._ZN9rocsparseL23check_matrix_csr_deviceILj256ELj8EfiiEEvT3_S1_T2_PKT1_PKS2_PKS1_S9_21rocsparse_index_base_22rocsparse_matrix_type_20rocsparse_fill_mode_23rocsparse_storage_mode_P22rocsparse_data_status_,"axG",@progbits,_ZN9rocsparseL23check_matrix_csr_deviceILj256ELj8EfiiEEvT3_S1_T2_PKT1_PKS2_PKS1_S9_21rocsparse_index_base_22rocsparse_matrix_type_20rocsparse_fill_mode_23rocsparse_storage_mode_P22rocsparse_data_status_,comdat
.Lfunc_end3:
	.size	_ZN9rocsparseL23check_matrix_csr_deviceILj256ELj8EfiiEEvT3_S1_T2_PKT1_PKS2_PKS1_S9_21rocsparse_index_base_22rocsparse_matrix_type_20rocsparse_fill_mode_23rocsparse_storage_mode_P22rocsparse_data_status_, .Lfunc_end3-_ZN9rocsparseL23check_matrix_csr_deviceILj256ELj8EfiiEEvT3_S1_T2_PKT1_PKS2_PKS1_S9_21rocsparse_index_base_22rocsparse_matrix_type_20rocsparse_fill_mode_23rocsparse_storage_mode_P22rocsparse_data_status_
                                        ; -- End function
	.set _ZN9rocsparseL23check_matrix_csr_deviceILj256ELj8EfiiEEvT3_S1_T2_PKT1_PKS2_PKS1_S9_21rocsparse_index_base_22rocsparse_matrix_type_20rocsparse_fill_mode_23rocsparse_storage_mode_P22rocsparse_data_status_.num_vgpr, 15
	.set _ZN9rocsparseL23check_matrix_csr_deviceILj256ELj8EfiiEEvT3_S1_T2_PKT1_PKS2_PKS1_S9_21rocsparse_index_base_22rocsparse_matrix_type_20rocsparse_fill_mode_23rocsparse_storage_mode_P22rocsparse_data_status_.num_agpr, 0
	.set _ZN9rocsparseL23check_matrix_csr_deviceILj256ELj8EfiiEEvT3_S1_T2_PKT1_PKS2_PKS1_S9_21rocsparse_index_base_22rocsparse_matrix_type_20rocsparse_fill_mode_23rocsparse_storage_mode_P22rocsparse_data_status_.numbered_sgpr, 50
	.set _ZN9rocsparseL23check_matrix_csr_deviceILj256ELj8EfiiEEvT3_S1_T2_PKT1_PKS2_PKS1_S9_21rocsparse_index_base_22rocsparse_matrix_type_20rocsparse_fill_mode_23rocsparse_storage_mode_P22rocsparse_data_status_.num_named_barrier, 0
	.set _ZN9rocsparseL23check_matrix_csr_deviceILj256ELj8EfiiEEvT3_S1_T2_PKT1_PKS2_PKS1_S9_21rocsparse_index_base_22rocsparse_matrix_type_20rocsparse_fill_mode_23rocsparse_storage_mode_P22rocsparse_data_status_.private_seg_size, 0
	.set _ZN9rocsparseL23check_matrix_csr_deviceILj256ELj8EfiiEEvT3_S1_T2_PKT1_PKS2_PKS1_S9_21rocsparse_index_base_22rocsparse_matrix_type_20rocsparse_fill_mode_23rocsparse_storage_mode_P22rocsparse_data_status_.uses_vcc, 1
	.set _ZN9rocsparseL23check_matrix_csr_deviceILj256ELj8EfiiEEvT3_S1_T2_PKT1_PKS2_PKS1_S9_21rocsparse_index_base_22rocsparse_matrix_type_20rocsparse_fill_mode_23rocsparse_storage_mode_P22rocsparse_data_status_.uses_flat_scratch, 0
	.set _ZN9rocsparseL23check_matrix_csr_deviceILj256ELj8EfiiEEvT3_S1_T2_PKT1_PKS2_PKS1_S9_21rocsparse_index_base_22rocsparse_matrix_type_20rocsparse_fill_mode_23rocsparse_storage_mode_P22rocsparse_data_status_.has_dyn_sized_stack, 0
	.set _ZN9rocsparseL23check_matrix_csr_deviceILj256ELj8EfiiEEvT3_S1_T2_PKT1_PKS2_PKS1_S9_21rocsparse_index_base_22rocsparse_matrix_type_20rocsparse_fill_mode_23rocsparse_storage_mode_P22rocsparse_data_status_.has_recursion, 0
	.set _ZN9rocsparseL23check_matrix_csr_deviceILj256ELj8EfiiEEvT3_S1_T2_PKT1_PKS2_PKS1_S9_21rocsparse_index_base_22rocsparse_matrix_type_20rocsparse_fill_mode_23rocsparse_storage_mode_P22rocsparse_data_status_.has_indirect_call, 0
	.section	.AMDGPU.csdata,"",@progbits
; Kernel info:
; codeLenInByte = 836
; TotalNumSgprs: 54
; NumVgprs: 15
; ScratchSize: 0
; MemoryBound: 0
; FloatMode: 240
; IeeeMode: 1
; LDSByteSize: 0 bytes/workgroup (compile time only)
; SGPRBlocks: 6
; VGPRBlocks: 3
; NumSGPRsForWavesPerEU: 54
; NumVGPRsForWavesPerEU: 15
; Occupancy: 10
; WaveLimiterHint : 0
; COMPUTE_PGM_RSRC2:SCRATCH_EN: 0
; COMPUTE_PGM_RSRC2:USER_SGPR: 6
; COMPUTE_PGM_RSRC2:TRAP_HANDLER: 0
; COMPUTE_PGM_RSRC2:TGID_X_EN: 1
; COMPUTE_PGM_RSRC2:TGID_Y_EN: 0
; COMPUTE_PGM_RSRC2:TGID_Z_EN: 0
; COMPUTE_PGM_RSRC2:TIDIG_COMP_CNT: 0
	.section	.text._ZN9rocsparseL23check_matrix_csr_deviceILj256ELj16EfiiEEvT3_S1_T2_PKT1_PKS2_PKS1_S9_21rocsparse_index_base_22rocsparse_matrix_type_20rocsparse_fill_mode_23rocsparse_storage_mode_P22rocsparse_data_status_,"axG",@progbits,_ZN9rocsparseL23check_matrix_csr_deviceILj256ELj16EfiiEEvT3_S1_T2_PKT1_PKS2_PKS1_S9_21rocsparse_index_base_22rocsparse_matrix_type_20rocsparse_fill_mode_23rocsparse_storage_mode_P22rocsparse_data_status_,comdat
	.globl	_ZN9rocsparseL23check_matrix_csr_deviceILj256ELj16EfiiEEvT3_S1_T2_PKT1_PKS2_PKS1_S9_21rocsparse_index_base_22rocsparse_matrix_type_20rocsparse_fill_mode_23rocsparse_storage_mode_P22rocsparse_data_status_ ; -- Begin function _ZN9rocsparseL23check_matrix_csr_deviceILj256ELj16EfiiEEvT3_S1_T2_PKT1_PKS2_PKS1_S9_21rocsparse_index_base_22rocsparse_matrix_type_20rocsparse_fill_mode_23rocsparse_storage_mode_P22rocsparse_data_status_
	.p2align	8
	.type	_ZN9rocsparseL23check_matrix_csr_deviceILj256ELj16EfiiEEvT3_S1_T2_PKT1_PKS2_PKS1_S9_21rocsparse_index_base_22rocsparse_matrix_type_20rocsparse_fill_mode_23rocsparse_storage_mode_P22rocsparse_data_status_,@function
_ZN9rocsparseL23check_matrix_csr_deviceILj256ELj16EfiiEEvT3_S1_T2_PKT1_PKS2_PKS1_S9_21rocsparse_index_base_22rocsparse_matrix_type_20rocsparse_fill_mode_23rocsparse_storage_mode_P22rocsparse_data_status_: ; @_ZN9rocsparseL23check_matrix_csr_deviceILj256ELj16EfiiEEvT3_S1_T2_PKT1_PKS2_PKS1_S9_21rocsparse_index_base_22rocsparse_matrix_type_20rocsparse_fill_mode_23rocsparse_storage_mode_P22rocsparse_data_status_
; %bb.0:
	s_load_dwordx2 s[16:17], s[4:5], 0x0
	v_lshl_or_b32 v1, s6, 8, v0
	v_lshrrev_b32_e32 v5, 4, v1
	s_waitcnt lgkmcnt(0)
	v_cmp_gt_i32_e32 vcc, s16, v5
	s_and_saveexec_b64 s[0:1], vcc
	s_cbranch_execz .LBB4_31
; %bb.1:
	s_load_dwordx2 s[0:1], s[4:5], 0x18
	v_lshlrev_b32_e32 v1, 2, v5
	s_mov_b64 s[8:9], -1
	v_mov_b32_e32 v9, 3
	s_waitcnt lgkmcnt(0)
	global_load_dwordx2 v[1:2], v1, s[0:1]
	s_load_dword s0, s[0:1], 0x0
	s_waitcnt vmcnt(0) lgkmcnt(0)
	v_subrev_u32_e32 v7, s0, v2
	v_cmp_lt_i32_e32 vcc, v2, v1
	v_cmp_gt_i32_e64 s[2:3], 0, v7
	v_subrev_u32_e32 v6, s0, v1
	s_or_b64 s[2:3], s[2:3], vcc
	v_cmp_lt_i32_e64 s[0:1], -1, v6
	s_xor_b64 s[2:3], s[2:3], -1
	s_and_b64 s[0:1], s[0:1], s[2:3]
	s_and_saveexec_b64 s[6:7], s[0:1]
	s_cbranch_execz .LBB4_29
; %bb.2:
	v_and_b32_e32 v0, 15, v0
	v_add_u32_e32 v0, v6, v0
	v_cmp_lt_u32_e32 vcc, v0, v7
	s_mov_b64 s[0:1], 0
	v_mov_b32_e32 v9, 3
	s_and_saveexec_b64 s[18:19], vcc
	s_cbranch_execz .LBB4_28
; %bb.3:
	s_load_dwordx8 s[8:15], s[4:5], 0x20
	s_load_dwordx2 s[20:21], s[4:5], 0x10
	s_mov_b64 s[22:23], 0
                                        ; implicit-def: $sgpr28_sgpr29
                                        ; implicit-def: $sgpr30_sgpr31
                                        ; implicit-def: $sgpr34_sgpr35
	s_waitcnt lgkmcnt(0)
	s_cmp_lg_u32 s13, 0
	s_cselect_b64 s[24:25], -1, 0
	s_cmp_lg_u32 s14, 0
	s_cselect_b64 s[26:27], -1, 0
	;; [unrolled: 2-line block ×3, first 2 shown]
	v_mov_b32_e32 v8, s9
	s_mov_b32 s9, 0x7f800000
	s_branch .LBB4_10
.LBB4_4:                                ;   in Loop: Header=BB4_10 Depth=1
	s_or_b64 exec, exec, s[48:49]
	s_orn2_b64 s[48:49], s[2:3], exec
	s_orn2_b64 s[0:1], s[42:43], exec
.LBB4_5:                                ;   in Loop: Header=BB4_10 Depth=1
	s_or_b64 exec, exec, s[46:47]
	s_orn2_b64 s[2:3], s[48:49], exec
	s_orn2_b64 s[0:1], s[0:1], exec
.LBB4_6:                                ;   in Loop: Header=BB4_10 Depth=1
	s_or_b64 exec, exec, s[44:45]
	s_orn2_b64 s[2:3], s[2:3], exec
	s_orn2_b64 s[0:1], s[0:1], exec
.LBB4_7:                                ;   in Loop: Header=BB4_10 Depth=1
	s_or_b64 exec, exec, s[40:41]
	s_orn2_b64 s[2:3], s[2:3], exec
	s_orn2_b64 s[0:1], s[0:1], exec
.LBB4_8:                                ;   in Loop: Header=BB4_10 Depth=1
	s_or_b64 exec, exec, s[38:39]
	s_andn2_b64 s[34:35], s[34:35], exec
	s_and_b64 s[2:3], s[2:3], exec
	s_or_b64 s[34:35], s[34:35], s[2:3]
	s_andn2_b64 s[2:3], s[30:31], exec
	s_and_b64 s[0:1], s[0:1], exec
	s_or_b64 s[30:31], s[2:3], s[0:1]
.LBB4_9:                                ;   in Loop: Header=BB4_10 Depth=1
	s_or_b64 exec, exec, s[36:37]
	s_and_b64 s[0:1], exec, s[30:31]
	s_or_b64 s[22:23], s[0:1], s[22:23]
	s_andn2_b64 s[0:1], s[28:29], exec
	s_and_b64 s[2:3], s[34:35], exec
	s_or_b64 s[28:29], s[0:1], s[2:3]
	s_andn2_b64 exec, exec, s[22:23]
	s_cbranch_execz .LBB4_27
.LBB4_10:                               ; =>This Inner Loop Header: Depth=1
	v_ashrrev_i32_e32 v1, 31, v0
	v_lshlrev_b64 v[3:4], 2, v[0:1]
	v_mov_b32_e32 v9, 4
	v_add_co_u32_e32 v1, vcc, s8, v3
	v_addc_co_u32_e32 v2, vcc, v8, v4, vcc
	global_load_dword v10, v[1:2], off
	s_or_b64 s[34:35], s[34:35], exec
	s_or_b64 s[30:31], s[30:31], exec
	s_waitcnt vmcnt(0)
	v_subrev_u32_e32 v11, s12, v10
	v_cmp_lt_i32_e32 vcc, -1, v11
	v_cmp_gt_i32_e64 s[0:1], s17, v11
	s_and_b64 s[0:1], vcc, s[0:1]
	s_and_saveexec_b64 s[36:37], s[0:1]
	s_cbranch_execz .LBB4_9
; %bb.11:                               ;   in Loop: Header=BB4_10 Depth=1
	v_cmp_le_i32_e64 s[42:43], v0, v6
	v_cmp_gt_i32_e32 vcc, v0, v6
	v_mov_b32_e32 v9, 4
	s_mov_b64 s[40:41], s[42:43]
	s_and_saveexec_b64 s[38:39], vcc
	s_cbranch_execz .LBB4_13
; %bb.12:                               ;   in Loop: Header=BB4_10 Depth=1
	v_mov_b32_e32 v9, s11
	v_add_co_u32_e32 v12, vcc, s10, v3
	v_addc_co_u32_e32 v13, vcc, v9, v4, vcc
	global_load_dwordx2 v[12:13], v[12:13], off offset:-4
	v_mov_b32_e32 v9, 5
	s_waitcnt vmcnt(0)
	v_subrev_u32_e32 v14, s12, v12
	v_cmp_lt_i32_e64 s[0:1], -1, v14
	v_cmp_gt_i32_e64 s[2:3], s17, v14
	s_and_b64 s[0:1], s[0:1], s[2:3]
	v_cmp_ne_u32_e32 vcc, v13, v12
	s_xor_b64 s[0:1], s[0:1], -1
	s_or_b64 s[0:1], vcc, s[0:1]
	s_andn2_b64 s[2:3], s[42:43], exec
	s_and_b64 s[0:1], s[0:1], exec
	s_or_b64 s[40:41], s[2:3], s[0:1]
.LBB4_13:                               ;   in Loop: Header=BB4_10 Depth=1
	s_or_b64 exec, exec, s[38:39]
	s_mov_b64 s[0:1], -1
	s_mov_b64 s[2:3], -1
	s_and_saveexec_b64 s[38:39], s[40:41]
	s_cbranch_execz .LBB4_8
; %bb.14:                               ;   in Loop: Header=BB4_10 Depth=1
	v_mov_b32_e32 v9, s21
	v_add_co_u32_e32 v3, vcc, s20, v3
	v_addc_co_u32_e32 v4, vcc, v9, v4, vcc
	global_load_dword v3, v[3:4], off
	v_mov_b32_e32 v9, 1
	s_waitcnt vmcnt(0)
	v_cmp_neq_f32_e32 vcc, s9, v3
	s_and_saveexec_b64 s[40:41], vcc
	s_cbranch_execz .LBB4_7
; %bb.15:                               ;   in Loop: Header=BB4_10 Depth=1
	v_cmp_o_f32_e32 vcc, v3, v3
	v_mov_b32_e32 v9, 2
	s_and_saveexec_b64 s[44:45], vcc
	s_cbranch_execz .LBB4_6
; %bb.16:                               ;   in Loop: Header=BB4_10 Depth=1
	s_and_b64 vcc, exec, s[24:25]
	s_cbranch_vccz .LBB4_19
; %bb.17:                               ;   in Loop: Header=BB4_10 Depth=1
	s_and_b64 vcc, exec, s[26:27]
	s_cbranch_vccz .LBB4_20
; %bb.18:                               ;   in Loop: Header=BB4_10 Depth=1
	v_cmp_le_i32_e32 vcc, v5, v11
	s_mov_b32 s13, 7
	s_and_b64 s[2:3], vcc, exec
	s_cbranch_execz .LBB4_21
	s_branch .LBB4_22
.LBB4_19:                               ;   in Loop: Header=BB4_10 Depth=1
	s_mov_b32 s13, 2
	s_branch .LBB4_22
.LBB4_20:                               ;   in Loop: Header=BB4_10 Depth=1
	s_mov_b64 s[2:3], 0
	s_mov_b32 s13, 2
.LBB4_21:                               ;   in Loop: Header=BB4_10 Depth=1
	v_cmp_ge_i32_e32 vcc, v5, v11
	s_andn2_b64 s[2:3], s[2:3], exec
	s_and_b64 s[46:47], vcc, exec
	s_mov_b32 s13, 7
	s_or_b64 s[2:3], s[2:3], s[46:47]
.LBB4_22:                               ;   in Loop: Header=BB4_10 Depth=1
	v_mov_b32_e32 v9, s13
	s_mov_b64 s[48:49], -1
	s_and_saveexec_b64 s[46:47], s[2:3]
	s_cbranch_execz .LBB4_5
; %bb.23:                               ;   in Loop: Header=BB4_10 Depth=1
	s_nor_b64 s[2:3], s[14:15], s[42:43]
	s_mov_b64 s[42:43], -1
	v_mov_b32_e32 v9, s13
	s_and_saveexec_b64 s[48:49], s[2:3]
	s_cbranch_execz .LBB4_25
; %bb.24:                               ;   in Loop: Header=BB4_10 Depth=1
	global_load_dword v1, v[1:2], off offset:-4
	v_mov_b32_e32 v9, 6
	s_waitcnt vmcnt(0)
	v_subrev_u32_e32 v2, s12, v1
	v_cmp_lt_i32_e64 s[0:1], -1, v2
	v_cmp_gt_i32_e64 s[2:3], s17, v2
	s_and_b64 s[0:1], s[0:1], s[2:3]
	v_cmp_gt_i32_e32 vcc, v10, v1
	s_xor_b64 s[0:1], s[0:1], -1
	s_or_b64 s[0:1], vcc, s[0:1]
	s_orn2_b64 s[0:1], s[0:1], exec
.LBB4_25:                               ;   in Loop: Header=BB4_10 Depth=1
	s_or_b64 exec, exec, s[48:49]
	s_mov_b64 s[2:3], -1
	s_and_saveexec_b64 s[48:49], s[0:1]
	s_cbranch_execz .LBB4_4
; %bb.26:                               ;   in Loop: Header=BB4_10 Depth=1
	v_add_u32_e32 v0, 16, v0
	v_cmp_ge_i32_e32 vcc, v0, v7
	s_xor_b64 s[2:3], exec, -1
	s_orn2_b64 s[42:43], vcc, exec
	s_branch .LBB4_4
.LBB4_27:
	s_or_b64 exec, exec, s[22:23]
	s_and_b64 s[0:1], s[28:29], exec
.LBB4_28:
	s_or_b64 exec, exec, s[18:19]
	s_orn2_b64 s[8:9], s[0:1], exec
.LBB4_29:
	s_or_b64 exec, exec, s[6:7]
	s_and_b64 exec, exec, s[8:9]
	s_cbranch_execz .LBB4_31
; %bb.30:
	s_load_dwordx2 s[0:1], s[4:5], 0x40
	v_mov_b32_e32 v0, 0
	s_waitcnt lgkmcnt(0)
	global_store_dword v0, v9, s[0:1]
.LBB4_31:
	s_endpgm
	.section	.rodata,"a",@progbits
	.p2align	6, 0x0
	.amdhsa_kernel _ZN9rocsparseL23check_matrix_csr_deviceILj256ELj16EfiiEEvT3_S1_T2_PKT1_PKS2_PKS1_S9_21rocsparse_index_base_22rocsparse_matrix_type_20rocsparse_fill_mode_23rocsparse_storage_mode_P22rocsparse_data_status_
		.amdhsa_group_segment_fixed_size 0
		.amdhsa_private_segment_fixed_size 0
		.amdhsa_kernarg_size 72
		.amdhsa_user_sgpr_count 6
		.amdhsa_user_sgpr_private_segment_buffer 1
		.amdhsa_user_sgpr_dispatch_ptr 0
		.amdhsa_user_sgpr_queue_ptr 0
		.amdhsa_user_sgpr_kernarg_segment_ptr 1
		.amdhsa_user_sgpr_dispatch_id 0
		.amdhsa_user_sgpr_flat_scratch_init 0
		.amdhsa_user_sgpr_private_segment_size 0
		.amdhsa_uses_dynamic_stack 0
		.amdhsa_system_sgpr_private_segment_wavefront_offset 0
		.amdhsa_system_sgpr_workgroup_id_x 1
		.amdhsa_system_sgpr_workgroup_id_y 0
		.amdhsa_system_sgpr_workgroup_id_z 0
		.amdhsa_system_sgpr_workgroup_info 0
		.amdhsa_system_vgpr_workitem_id 0
		.amdhsa_next_free_vgpr 15
		.amdhsa_next_free_sgpr 50
		.amdhsa_reserve_vcc 1
		.amdhsa_reserve_flat_scratch 0
		.amdhsa_float_round_mode_32 0
		.amdhsa_float_round_mode_16_64 0
		.amdhsa_float_denorm_mode_32 3
		.amdhsa_float_denorm_mode_16_64 3
		.amdhsa_dx10_clamp 1
		.amdhsa_ieee_mode 1
		.amdhsa_fp16_overflow 0
		.amdhsa_exception_fp_ieee_invalid_op 0
		.amdhsa_exception_fp_denorm_src 0
		.amdhsa_exception_fp_ieee_div_zero 0
		.amdhsa_exception_fp_ieee_overflow 0
		.amdhsa_exception_fp_ieee_underflow 0
		.amdhsa_exception_fp_ieee_inexact 0
		.amdhsa_exception_int_div_zero 0
	.end_amdhsa_kernel
	.section	.text._ZN9rocsparseL23check_matrix_csr_deviceILj256ELj16EfiiEEvT3_S1_T2_PKT1_PKS2_PKS1_S9_21rocsparse_index_base_22rocsparse_matrix_type_20rocsparse_fill_mode_23rocsparse_storage_mode_P22rocsparse_data_status_,"axG",@progbits,_ZN9rocsparseL23check_matrix_csr_deviceILj256ELj16EfiiEEvT3_S1_T2_PKT1_PKS2_PKS1_S9_21rocsparse_index_base_22rocsparse_matrix_type_20rocsparse_fill_mode_23rocsparse_storage_mode_P22rocsparse_data_status_,comdat
.Lfunc_end4:
	.size	_ZN9rocsparseL23check_matrix_csr_deviceILj256ELj16EfiiEEvT3_S1_T2_PKT1_PKS2_PKS1_S9_21rocsparse_index_base_22rocsparse_matrix_type_20rocsparse_fill_mode_23rocsparse_storage_mode_P22rocsparse_data_status_, .Lfunc_end4-_ZN9rocsparseL23check_matrix_csr_deviceILj256ELj16EfiiEEvT3_S1_T2_PKT1_PKS2_PKS1_S9_21rocsparse_index_base_22rocsparse_matrix_type_20rocsparse_fill_mode_23rocsparse_storage_mode_P22rocsparse_data_status_
                                        ; -- End function
	.set _ZN9rocsparseL23check_matrix_csr_deviceILj256ELj16EfiiEEvT3_S1_T2_PKT1_PKS2_PKS1_S9_21rocsparse_index_base_22rocsparse_matrix_type_20rocsparse_fill_mode_23rocsparse_storage_mode_P22rocsparse_data_status_.num_vgpr, 15
	.set _ZN9rocsparseL23check_matrix_csr_deviceILj256ELj16EfiiEEvT3_S1_T2_PKT1_PKS2_PKS1_S9_21rocsparse_index_base_22rocsparse_matrix_type_20rocsparse_fill_mode_23rocsparse_storage_mode_P22rocsparse_data_status_.num_agpr, 0
	.set _ZN9rocsparseL23check_matrix_csr_deviceILj256ELj16EfiiEEvT3_S1_T2_PKT1_PKS2_PKS1_S9_21rocsparse_index_base_22rocsparse_matrix_type_20rocsparse_fill_mode_23rocsparse_storage_mode_P22rocsparse_data_status_.numbered_sgpr, 50
	.set _ZN9rocsparseL23check_matrix_csr_deviceILj256ELj16EfiiEEvT3_S1_T2_PKT1_PKS2_PKS1_S9_21rocsparse_index_base_22rocsparse_matrix_type_20rocsparse_fill_mode_23rocsparse_storage_mode_P22rocsparse_data_status_.num_named_barrier, 0
	.set _ZN9rocsparseL23check_matrix_csr_deviceILj256ELj16EfiiEEvT3_S1_T2_PKT1_PKS2_PKS1_S9_21rocsparse_index_base_22rocsparse_matrix_type_20rocsparse_fill_mode_23rocsparse_storage_mode_P22rocsparse_data_status_.private_seg_size, 0
	.set _ZN9rocsparseL23check_matrix_csr_deviceILj256ELj16EfiiEEvT3_S1_T2_PKT1_PKS2_PKS1_S9_21rocsparse_index_base_22rocsparse_matrix_type_20rocsparse_fill_mode_23rocsparse_storage_mode_P22rocsparse_data_status_.uses_vcc, 1
	.set _ZN9rocsparseL23check_matrix_csr_deviceILj256ELj16EfiiEEvT3_S1_T2_PKT1_PKS2_PKS1_S9_21rocsparse_index_base_22rocsparse_matrix_type_20rocsparse_fill_mode_23rocsparse_storage_mode_P22rocsparse_data_status_.uses_flat_scratch, 0
	.set _ZN9rocsparseL23check_matrix_csr_deviceILj256ELj16EfiiEEvT3_S1_T2_PKT1_PKS2_PKS1_S9_21rocsparse_index_base_22rocsparse_matrix_type_20rocsparse_fill_mode_23rocsparse_storage_mode_P22rocsparse_data_status_.has_dyn_sized_stack, 0
	.set _ZN9rocsparseL23check_matrix_csr_deviceILj256ELj16EfiiEEvT3_S1_T2_PKT1_PKS2_PKS1_S9_21rocsparse_index_base_22rocsparse_matrix_type_20rocsparse_fill_mode_23rocsparse_storage_mode_P22rocsparse_data_status_.has_recursion, 0
	.set _ZN9rocsparseL23check_matrix_csr_deviceILj256ELj16EfiiEEvT3_S1_T2_PKT1_PKS2_PKS1_S9_21rocsparse_index_base_22rocsparse_matrix_type_20rocsparse_fill_mode_23rocsparse_storage_mode_P22rocsparse_data_status_.has_indirect_call, 0
	.section	.AMDGPU.csdata,"",@progbits
; Kernel info:
; codeLenInByte = 836
; TotalNumSgprs: 54
; NumVgprs: 15
; ScratchSize: 0
; MemoryBound: 0
; FloatMode: 240
; IeeeMode: 1
; LDSByteSize: 0 bytes/workgroup (compile time only)
; SGPRBlocks: 6
; VGPRBlocks: 3
; NumSGPRsForWavesPerEU: 54
; NumVGPRsForWavesPerEU: 15
; Occupancy: 10
; WaveLimiterHint : 0
; COMPUTE_PGM_RSRC2:SCRATCH_EN: 0
; COMPUTE_PGM_RSRC2:USER_SGPR: 6
; COMPUTE_PGM_RSRC2:TRAP_HANDLER: 0
; COMPUTE_PGM_RSRC2:TGID_X_EN: 1
; COMPUTE_PGM_RSRC2:TGID_Y_EN: 0
; COMPUTE_PGM_RSRC2:TGID_Z_EN: 0
; COMPUTE_PGM_RSRC2:TIDIG_COMP_CNT: 0
	.section	.text._ZN9rocsparseL23check_matrix_csr_deviceILj256ELj32EfiiEEvT3_S1_T2_PKT1_PKS2_PKS1_S9_21rocsparse_index_base_22rocsparse_matrix_type_20rocsparse_fill_mode_23rocsparse_storage_mode_P22rocsparse_data_status_,"axG",@progbits,_ZN9rocsparseL23check_matrix_csr_deviceILj256ELj32EfiiEEvT3_S1_T2_PKT1_PKS2_PKS1_S9_21rocsparse_index_base_22rocsparse_matrix_type_20rocsparse_fill_mode_23rocsparse_storage_mode_P22rocsparse_data_status_,comdat
	.globl	_ZN9rocsparseL23check_matrix_csr_deviceILj256ELj32EfiiEEvT3_S1_T2_PKT1_PKS2_PKS1_S9_21rocsparse_index_base_22rocsparse_matrix_type_20rocsparse_fill_mode_23rocsparse_storage_mode_P22rocsparse_data_status_ ; -- Begin function _ZN9rocsparseL23check_matrix_csr_deviceILj256ELj32EfiiEEvT3_S1_T2_PKT1_PKS2_PKS1_S9_21rocsparse_index_base_22rocsparse_matrix_type_20rocsparse_fill_mode_23rocsparse_storage_mode_P22rocsparse_data_status_
	.p2align	8
	.type	_ZN9rocsparseL23check_matrix_csr_deviceILj256ELj32EfiiEEvT3_S1_T2_PKT1_PKS2_PKS1_S9_21rocsparse_index_base_22rocsparse_matrix_type_20rocsparse_fill_mode_23rocsparse_storage_mode_P22rocsparse_data_status_,@function
_ZN9rocsparseL23check_matrix_csr_deviceILj256ELj32EfiiEEvT3_S1_T2_PKT1_PKS2_PKS1_S9_21rocsparse_index_base_22rocsparse_matrix_type_20rocsparse_fill_mode_23rocsparse_storage_mode_P22rocsparse_data_status_: ; @_ZN9rocsparseL23check_matrix_csr_deviceILj256ELj32EfiiEEvT3_S1_T2_PKT1_PKS2_PKS1_S9_21rocsparse_index_base_22rocsparse_matrix_type_20rocsparse_fill_mode_23rocsparse_storage_mode_P22rocsparse_data_status_
; %bb.0:
	s_load_dwordx2 s[16:17], s[4:5], 0x0
	v_lshl_or_b32 v1, s6, 8, v0
	v_lshrrev_b32_e32 v5, 5, v1
	s_waitcnt lgkmcnt(0)
	v_cmp_gt_i32_e32 vcc, s16, v5
	s_and_saveexec_b64 s[0:1], vcc
	s_cbranch_execz .LBB5_31
; %bb.1:
	s_load_dwordx2 s[0:1], s[4:5], 0x18
	v_lshlrev_b32_e32 v1, 2, v5
	s_mov_b64 s[8:9], -1
	v_mov_b32_e32 v9, 3
	s_waitcnt lgkmcnt(0)
	global_load_dwordx2 v[1:2], v1, s[0:1]
	s_load_dword s0, s[0:1], 0x0
	s_waitcnt vmcnt(0) lgkmcnt(0)
	v_subrev_u32_e32 v7, s0, v2
	v_cmp_lt_i32_e32 vcc, v2, v1
	v_cmp_gt_i32_e64 s[2:3], 0, v7
	v_subrev_u32_e32 v6, s0, v1
	s_or_b64 s[2:3], s[2:3], vcc
	v_cmp_lt_i32_e64 s[0:1], -1, v6
	s_xor_b64 s[2:3], s[2:3], -1
	s_and_b64 s[0:1], s[0:1], s[2:3]
	s_and_saveexec_b64 s[6:7], s[0:1]
	s_cbranch_execz .LBB5_29
; %bb.2:
	v_and_b32_e32 v0, 31, v0
	v_add_u32_e32 v0, v6, v0
	v_cmp_lt_u32_e32 vcc, v0, v7
	s_mov_b64 s[0:1], 0
	v_mov_b32_e32 v9, 3
	s_and_saveexec_b64 s[18:19], vcc
	s_cbranch_execz .LBB5_28
; %bb.3:
	s_load_dwordx8 s[8:15], s[4:5], 0x20
	s_load_dwordx2 s[20:21], s[4:5], 0x10
	s_mov_b64 s[22:23], 0
                                        ; implicit-def: $sgpr28_sgpr29
                                        ; implicit-def: $sgpr30_sgpr31
                                        ; implicit-def: $sgpr34_sgpr35
	s_waitcnt lgkmcnt(0)
	s_cmp_lg_u32 s13, 0
	s_cselect_b64 s[24:25], -1, 0
	s_cmp_lg_u32 s14, 0
	s_cselect_b64 s[26:27], -1, 0
	s_cmp_lg_u32 s15, 0
	s_cselect_b64 s[14:15], -1, 0
	v_mov_b32_e32 v8, s9
	s_mov_b32 s9, 0x7f800000
	s_branch .LBB5_10
.LBB5_4:                                ;   in Loop: Header=BB5_10 Depth=1
	s_or_b64 exec, exec, s[48:49]
	s_orn2_b64 s[48:49], s[2:3], exec
	s_orn2_b64 s[0:1], s[42:43], exec
.LBB5_5:                                ;   in Loop: Header=BB5_10 Depth=1
	s_or_b64 exec, exec, s[46:47]
	s_orn2_b64 s[2:3], s[48:49], exec
	s_orn2_b64 s[0:1], s[0:1], exec
.LBB5_6:                                ;   in Loop: Header=BB5_10 Depth=1
	s_or_b64 exec, exec, s[44:45]
	s_orn2_b64 s[2:3], s[2:3], exec
	s_orn2_b64 s[0:1], s[0:1], exec
.LBB5_7:                                ;   in Loop: Header=BB5_10 Depth=1
	s_or_b64 exec, exec, s[40:41]
	s_orn2_b64 s[2:3], s[2:3], exec
	s_orn2_b64 s[0:1], s[0:1], exec
.LBB5_8:                                ;   in Loop: Header=BB5_10 Depth=1
	s_or_b64 exec, exec, s[38:39]
	s_andn2_b64 s[34:35], s[34:35], exec
	s_and_b64 s[2:3], s[2:3], exec
	s_or_b64 s[34:35], s[34:35], s[2:3]
	s_andn2_b64 s[2:3], s[30:31], exec
	s_and_b64 s[0:1], s[0:1], exec
	s_or_b64 s[30:31], s[2:3], s[0:1]
.LBB5_9:                                ;   in Loop: Header=BB5_10 Depth=1
	s_or_b64 exec, exec, s[36:37]
	s_and_b64 s[0:1], exec, s[30:31]
	s_or_b64 s[22:23], s[0:1], s[22:23]
	s_andn2_b64 s[0:1], s[28:29], exec
	s_and_b64 s[2:3], s[34:35], exec
	s_or_b64 s[28:29], s[0:1], s[2:3]
	s_andn2_b64 exec, exec, s[22:23]
	s_cbranch_execz .LBB5_27
.LBB5_10:                               ; =>This Inner Loop Header: Depth=1
	v_ashrrev_i32_e32 v1, 31, v0
	v_lshlrev_b64 v[3:4], 2, v[0:1]
	v_mov_b32_e32 v9, 4
	v_add_co_u32_e32 v1, vcc, s8, v3
	v_addc_co_u32_e32 v2, vcc, v8, v4, vcc
	global_load_dword v10, v[1:2], off
	s_or_b64 s[34:35], s[34:35], exec
	s_or_b64 s[30:31], s[30:31], exec
	s_waitcnt vmcnt(0)
	v_subrev_u32_e32 v11, s12, v10
	v_cmp_lt_i32_e32 vcc, -1, v11
	v_cmp_gt_i32_e64 s[0:1], s17, v11
	s_and_b64 s[0:1], vcc, s[0:1]
	s_and_saveexec_b64 s[36:37], s[0:1]
	s_cbranch_execz .LBB5_9
; %bb.11:                               ;   in Loop: Header=BB5_10 Depth=1
	v_cmp_le_i32_e64 s[42:43], v0, v6
	v_cmp_gt_i32_e32 vcc, v0, v6
	v_mov_b32_e32 v9, 4
	s_mov_b64 s[40:41], s[42:43]
	s_and_saveexec_b64 s[38:39], vcc
	s_cbranch_execz .LBB5_13
; %bb.12:                               ;   in Loop: Header=BB5_10 Depth=1
	v_mov_b32_e32 v9, s11
	v_add_co_u32_e32 v12, vcc, s10, v3
	v_addc_co_u32_e32 v13, vcc, v9, v4, vcc
	global_load_dwordx2 v[12:13], v[12:13], off offset:-4
	v_mov_b32_e32 v9, 5
	s_waitcnt vmcnt(0)
	v_subrev_u32_e32 v14, s12, v12
	v_cmp_lt_i32_e64 s[0:1], -1, v14
	v_cmp_gt_i32_e64 s[2:3], s17, v14
	s_and_b64 s[0:1], s[0:1], s[2:3]
	v_cmp_ne_u32_e32 vcc, v13, v12
	s_xor_b64 s[0:1], s[0:1], -1
	s_or_b64 s[0:1], vcc, s[0:1]
	s_andn2_b64 s[2:3], s[42:43], exec
	s_and_b64 s[0:1], s[0:1], exec
	s_or_b64 s[40:41], s[2:3], s[0:1]
.LBB5_13:                               ;   in Loop: Header=BB5_10 Depth=1
	s_or_b64 exec, exec, s[38:39]
	s_mov_b64 s[0:1], -1
	s_mov_b64 s[2:3], -1
	s_and_saveexec_b64 s[38:39], s[40:41]
	s_cbranch_execz .LBB5_8
; %bb.14:                               ;   in Loop: Header=BB5_10 Depth=1
	v_mov_b32_e32 v9, s21
	v_add_co_u32_e32 v3, vcc, s20, v3
	v_addc_co_u32_e32 v4, vcc, v9, v4, vcc
	global_load_dword v3, v[3:4], off
	v_mov_b32_e32 v9, 1
	s_waitcnt vmcnt(0)
	v_cmp_neq_f32_e32 vcc, s9, v3
	s_and_saveexec_b64 s[40:41], vcc
	s_cbranch_execz .LBB5_7
; %bb.15:                               ;   in Loop: Header=BB5_10 Depth=1
	v_cmp_o_f32_e32 vcc, v3, v3
	v_mov_b32_e32 v9, 2
	s_and_saveexec_b64 s[44:45], vcc
	s_cbranch_execz .LBB5_6
; %bb.16:                               ;   in Loop: Header=BB5_10 Depth=1
	s_and_b64 vcc, exec, s[24:25]
	s_cbranch_vccz .LBB5_19
; %bb.17:                               ;   in Loop: Header=BB5_10 Depth=1
	s_and_b64 vcc, exec, s[26:27]
	s_cbranch_vccz .LBB5_20
; %bb.18:                               ;   in Loop: Header=BB5_10 Depth=1
	v_cmp_le_i32_e32 vcc, v5, v11
	s_mov_b32 s13, 7
	s_and_b64 s[2:3], vcc, exec
	s_cbranch_execz .LBB5_21
	s_branch .LBB5_22
.LBB5_19:                               ;   in Loop: Header=BB5_10 Depth=1
	s_mov_b32 s13, 2
	s_branch .LBB5_22
.LBB5_20:                               ;   in Loop: Header=BB5_10 Depth=1
	s_mov_b64 s[2:3], 0
	s_mov_b32 s13, 2
.LBB5_21:                               ;   in Loop: Header=BB5_10 Depth=1
	v_cmp_ge_i32_e32 vcc, v5, v11
	s_andn2_b64 s[2:3], s[2:3], exec
	s_and_b64 s[46:47], vcc, exec
	s_mov_b32 s13, 7
	s_or_b64 s[2:3], s[2:3], s[46:47]
.LBB5_22:                               ;   in Loop: Header=BB5_10 Depth=1
	v_mov_b32_e32 v9, s13
	s_mov_b64 s[48:49], -1
	s_and_saveexec_b64 s[46:47], s[2:3]
	s_cbranch_execz .LBB5_5
; %bb.23:                               ;   in Loop: Header=BB5_10 Depth=1
	s_nor_b64 s[2:3], s[14:15], s[42:43]
	s_mov_b64 s[42:43], -1
	v_mov_b32_e32 v9, s13
	s_and_saveexec_b64 s[48:49], s[2:3]
	s_cbranch_execz .LBB5_25
; %bb.24:                               ;   in Loop: Header=BB5_10 Depth=1
	global_load_dword v1, v[1:2], off offset:-4
	v_mov_b32_e32 v9, 6
	s_waitcnt vmcnt(0)
	v_subrev_u32_e32 v2, s12, v1
	v_cmp_lt_i32_e64 s[0:1], -1, v2
	v_cmp_gt_i32_e64 s[2:3], s17, v2
	s_and_b64 s[0:1], s[0:1], s[2:3]
	v_cmp_gt_i32_e32 vcc, v10, v1
	s_xor_b64 s[0:1], s[0:1], -1
	s_or_b64 s[0:1], vcc, s[0:1]
	s_orn2_b64 s[0:1], s[0:1], exec
.LBB5_25:                               ;   in Loop: Header=BB5_10 Depth=1
	s_or_b64 exec, exec, s[48:49]
	s_mov_b64 s[2:3], -1
	s_and_saveexec_b64 s[48:49], s[0:1]
	s_cbranch_execz .LBB5_4
; %bb.26:                               ;   in Loop: Header=BB5_10 Depth=1
	v_add_u32_e32 v0, 32, v0
	v_cmp_ge_i32_e32 vcc, v0, v7
	s_xor_b64 s[2:3], exec, -1
	s_orn2_b64 s[42:43], vcc, exec
	s_branch .LBB5_4
.LBB5_27:
	s_or_b64 exec, exec, s[22:23]
	s_and_b64 s[0:1], s[28:29], exec
.LBB5_28:
	s_or_b64 exec, exec, s[18:19]
	s_orn2_b64 s[8:9], s[0:1], exec
.LBB5_29:
	s_or_b64 exec, exec, s[6:7]
	s_and_b64 exec, exec, s[8:9]
	s_cbranch_execz .LBB5_31
; %bb.30:
	s_load_dwordx2 s[0:1], s[4:5], 0x40
	v_mov_b32_e32 v0, 0
	s_waitcnt lgkmcnt(0)
	global_store_dword v0, v9, s[0:1]
.LBB5_31:
	s_endpgm
	.section	.rodata,"a",@progbits
	.p2align	6, 0x0
	.amdhsa_kernel _ZN9rocsparseL23check_matrix_csr_deviceILj256ELj32EfiiEEvT3_S1_T2_PKT1_PKS2_PKS1_S9_21rocsparse_index_base_22rocsparse_matrix_type_20rocsparse_fill_mode_23rocsparse_storage_mode_P22rocsparse_data_status_
		.amdhsa_group_segment_fixed_size 0
		.amdhsa_private_segment_fixed_size 0
		.amdhsa_kernarg_size 72
		.amdhsa_user_sgpr_count 6
		.amdhsa_user_sgpr_private_segment_buffer 1
		.amdhsa_user_sgpr_dispatch_ptr 0
		.amdhsa_user_sgpr_queue_ptr 0
		.amdhsa_user_sgpr_kernarg_segment_ptr 1
		.amdhsa_user_sgpr_dispatch_id 0
		.amdhsa_user_sgpr_flat_scratch_init 0
		.amdhsa_user_sgpr_private_segment_size 0
		.amdhsa_uses_dynamic_stack 0
		.amdhsa_system_sgpr_private_segment_wavefront_offset 0
		.amdhsa_system_sgpr_workgroup_id_x 1
		.amdhsa_system_sgpr_workgroup_id_y 0
		.amdhsa_system_sgpr_workgroup_id_z 0
		.amdhsa_system_sgpr_workgroup_info 0
		.amdhsa_system_vgpr_workitem_id 0
		.amdhsa_next_free_vgpr 15
		.amdhsa_next_free_sgpr 50
		.amdhsa_reserve_vcc 1
		.amdhsa_reserve_flat_scratch 0
		.amdhsa_float_round_mode_32 0
		.amdhsa_float_round_mode_16_64 0
		.amdhsa_float_denorm_mode_32 3
		.amdhsa_float_denorm_mode_16_64 3
		.amdhsa_dx10_clamp 1
		.amdhsa_ieee_mode 1
		.amdhsa_fp16_overflow 0
		.amdhsa_exception_fp_ieee_invalid_op 0
		.amdhsa_exception_fp_denorm_src 0
		.amdhsa_exception_fp_ieee_div_zero 0
		.amdhsa_exception_fp_ieee_overflow 0
		.amdhsa_exception_fp_ieee_underflow 0
		.amdhsa_exception_fp_ieee_inexact 0
		.amdhsa_exception_int_div_zero 0
	.end_amdhsa_kernel
	.section	.text._ZN9rocsparseL23check_matrix_csr_deviceILj256ELj32EfiiEEvT3_S1_T2_PKT1_PKS2_PKS1_S9_21rocsparse_index_base_22rocsparse_matrix_type_20rocsparse_fill_mode_23rocsparse_storage_mode_P22rocsparse_data_status_,"axG",@progbits,_ZN9rocsparseL23check_matrix_csr_deviceILj256ELj32EfiiEEvT3_S1_T2_PKT1_PKS2_PKS1_S9_21rocsparse_index_base_22rocsparse_matrix_type_20rocsparse_fill_mode_23rocsparse_storage_mode_P22rocsparse_data_status_,comdat
.Lfunc_end5:
	.size	_ZN9rocsparseL23check_matrix_csr_deviceILj256ELj32EfiiEEvT3_S1_T2_PKT1_PKS2_PKS1_S9_21rocsparse_index_base_22rocsparse_matrix_type_20rocsparse_fill_mode_23rocsparse_storage_mode_P22rocsparse_data_status_, .Lfunc_end5-_ZN9rocsparseL23check_matrix_csr_deviceILj256ELj32EfiiEEvT3_S1_T2_PKT1_PKS2_PKS1_S9_21rocsparse_index_base_22rocsparse_matrix_type_20rocsparse_fill_mode_23rocsparse_storage_mode_P22rocsparse_data_status_
                                        ; -- End function
	.set _ZN9rocsparseL23check_matrix_csr_deviceILj256ELj32EfiiEEvT3_S1_T2_PKT1_PKS2_PKS1_S9_21rocsparse_index_base_22rocsparse_matrix_type_20rocsparse_fill_mode_23rocsparse_storage_mode_P22rocsparse_data_status_.num_vgpr, 15
	.set _ZN9rocsparseL23check_matrix_csr_deviceILj256ELj32EfiiEEvT3_S1_T2_PKT1_PKS2_PKS1_S9_21rocsparse_index_base_22rocsparse_matrix_type_20rocsparse_fill_mode_23rocsparse_storage_mode_P22rocsparse_data_status_.num_agpr, 0
	.set _ZN9rocsparseL23check_matrix_csr_deviceILj256ELj32EfiiEEvT3_S1_T2_PKT1_PKS2_PKS1_S9_21rocsparse_index_base_22rocsparse_matrix_type_20rocsparse_fill_mode_23rocsparse_storage_mode_P22rocsparse_data_status_.numbered_sgpr, 50
	.set _ZN9rocsparseL23check_matrix_csr_deviceILj256ELj32EfiiEEvT3_S1_T2_PKT1_PKS2_PKS1_S9_21rocsparse_index_base_22rocsparse_matrix_type_20rocsparse_fill_mode_23rocsparse_storage_mode_P22rocsparse_data_status_.num_named_barrier, 0
	.set _ZN9rocsparseL23check_matrix_csr_deviceILj256ELj32EfiiEEvT3_S1_T2_PKT1_PKS2_PKS1_S9_21rocsparse_index_base_22rocsparse_matrix_type_20rocsparse_fill_mode_23rocsparse_storage_mode_P22rocsparse_data_status_.private_seg_size, 0
	.set _ZN9rocsparseL23check_matrix_csr_deviceILj256ELj32EfiiEEvT3_S1_T2_PKT1_PKS2_PKS1_S9_21rocsparse_index_base_22rocsparse_matrix_type_20rocsparse_fill_mode_23rocsparse_storage_mode_P22rocsparse_data_status_.uses_vcc, 1
	.set _ZN9rocsparseL23check_matrix_csr_deviceILj256ELj32EfiiEEvT3_S1_T2_PKT1_PKS2_PKS1_S9_21rocsparse_index_base_22rocsparse_matrix_type_20rocsparse_fill_mode_23rocsparse_storage_mode_P22rocsparse_data_status_.uses_flat_scratch, 0
	.set _ZN9rocsparseL23check_matrix_csr_deviceILj256ELj32EfiiEEvT3_S1_T2_PKT1_PKS2_PKS1_S9_21rocsparse_index_base_22rocsparse_matrix_type_20rocsparse_fill_mode_23rocsparse_storage_mode_P22rocsparse_data_status_.has_dyn_sized_stack, 0
	.set _ZN9rocsparseL23check_matrix_csr_deviceILj256ELj32EfiiEEvT3_S1_T2_PKT1_PKS2_PKS1_S9_21rocsparse_index_base_22rocsparse_matrix_type_20rocsparse_fill_mode_23rocsparse_storage_mode_P22rocsparse_data_status_.has_recursion, 0
	.set _ZN9rocsparseL23check_matrix_csr_deviceILj256ELj32EfiiEEvT3_S1_T2_PKT1_PKS2_PKS1_S9_21rocsparse_index_base_22rocsparse_matrix_type_20rocsparse_fill_mode_23rocsparse_storage_mode_P22rocsparse_data_status_.has_indirect_call, 0
	.section	.AMDGPU.csdata,"",@progbits
; Kernel info:
; codeLenInByte = 836
; TotalNumSgprs: 54
; NumVgprs: 15
; ScratchSize: 0
; MemoryBound: 0
; FloatMode: 240
; IeeeMode: 1
; LDSByteSize: 0 bytes/workgroup (compile time only)
; SGPRBlocks: 6
; VGPRBlocks: 3
; NumSGPRsForWavesPerEU: 54
; NumVGPRsForWavesPerEU: 15
; Occupancy: 10
; WaveLimiterHint : 0
; COMPUTE_PGM_RSRC2:SCRATCH_EN: 0
; COMPUTE_PGM_RSRC2:USER_SGPR: 6
; COMPUTE_PGM_RSRC2:TRAP_HANDLER: 0
; COMPUTE_PGM_RSRC2:TGID_X_EN: 1
; COMPUTE_PGM_RSRC2:TGID_Y_EN: 0
; COMPUTE_PGM_RSRC2:TGID_Z_EN: 0
; COMPUTE_PGM_RSRC2:TIDIG_COMP_CNT: 0
	.section	.text._ZN9rocsparseL23check_matrix_csr_deviceILj256ELj64EfiiEEvT3_S1_T2_PKT1_PKS2_PKS1_S9_21rocsparse_index_base_22rocsparse_matrix_type_20rocsparse_fill_mode_23rocsparse_storage_mode_P22rocsparse_data_status_,"axG",@progbits,_ZN9rocsparseL23check_matrix_csr_deviceILj256ELj64EfiiEEvT3_S1_T2_PKT1_PKS2_PKS1_S9_21rocsparse_index_base_22rocsparse_matrix_type_20rocsparse_fill_mode_23rocsparse_storage_mode_P22rocsparse_data_status_,comdat
	.globl	_ZN9rocsparseL23check_matrix_csr_deviceILj256ELj64EfiiEEvT3_S1_T2_PKT1_PKS2_PKS1_S9_21rocsparse_index_base_22rocsparse_matrix_type_20rocsparse_fill_mode_23rocsparse_storage_mode_P22rocsparse_data_status_ ; -- Begin function _ZN9rocsparseL23check_matrix_csr_deviceILj256ELj64EfiiEEvT3_S1_T2_PKT1_PKS2_PKS1_S9_21rocsparse_index_base_22rocsparse_matrix_type_20rocsparse_fill_mode_23rocsparse_storage_mode_P22rocsparse_data_status_
	.p2align	8
	.type	_ZN9rocsparseL23check_matrix_csr_deviceILj256ELj64EfiiEEvT3_S1_T2_PKT1_PKS2_PKS1_S9_21rocsparse_index_base_22rocsparse_matrix_type_20rocsparse_fill_mode_23rocsparse_storage_mode_P22rocsparse_data_status_,@function
_ZN9rocsparseL23check_matrix_csr_deviceILj256ELj64EfiiEEvT3_S1_T2_PKT1_PKS2_PKS1_S9_21rocsparse_index_base_22rocsparse_matrix_type_20rocsparse_fill_mode_23rocsparse_storage_mode_P22rocsparse_data_status_: ; @_ZN9rocsparseL23check_matrix_csr_deviceILj256ELj64EfiiEEvT3_S1_T2_PKT1_PKS2_PKS1_S9_21rocsparse_index_base_22rocsparse_matrix_type_20rocsparse_fill_mode_23rocsparse_storage_mode_P22rocsparse_data_status_
; %bb.0:
	s_load_dwordx2 s[16:17], s[4:5], 0x0
	v_lshl_or_b32 v1, s6, 8, v0
	v_lshrrev_b32_e32 v5, 6, v1
	s_waitcnt lgkmcnt(0)
	v_cmp_gt_i32_e32 vcc, s16, v5
	s_and_saveexec_b64 s[0:1], vcc
	s_cbranch_execz .LBB6_31
; %bb.1:
	s_load_dwordx2 s[0:1], s[4:5], 0x18
	v_lshlrev_b32_e32 v1, 2, v5
	s_mov_b64 s[8:9], -1
	v_mov_b32_e32 v9, 3
	s_waitcnt lgkmcnt(0)
	global_load_dwordx2 v[1:2], v1, s[0:1]
	s_load_dword s0, s[0:1], 0x0
	s_waitcnt vmcnt(0) lgkmcnt(0)
	v_subrev_u32_e32 v7, s0, v2
	v_cmp_lt_i32_e32 vcc, v2, v1
	v_cmp_gt_i32_e64 s[2:3], 0, v7
	v_subrev_u32_e32 v6, s0, v1
	s_or_b64 s[2:3], s[2:3], vcc
	v_cmp_lt_i32_e64 s[0:1], -1, v6
	s_xor_b64 s[2:3], s[2:3], -1
	s_and_b64 s[0:1], s[0:1], s[2:3]
	s_and_saveexec_b64 s[6:7], s[0:1]
	s_cbranch_execz .LBB6_29
; %bb.2:
	v_and_b32_e32 v0, 63, v0
	v_add_u32_e32 v0, v6, v0
	v_cmp_lt_u32_e32 vcc, v0, v7
	s_mov_b64 s[0:1], 0
	v_mov_b32_e32 v9, 3
	s_and_saveexec_b64 s[18:19], vcc
	s_cbranch_execz .LBB6_28
; %bb.3:
	s_load_dwordx8 s[8:15], s[4:5], 0x20
	s_load_dwordx2 s[20:21], s[4:5], 0x10
	s_mov_b64 s[22:23], 0
                                        ; implicit-def: $sgpr28_sgpr29
                                        ; implicit-def: $sgpr30_sgpr31
                                        ; implicit-def: $sgpr34_sgpr35
	s_waitcnt lgkmcnt(0)
	s_cmp_lg_u32 s13, 0
	s_cselect_b64 s[24:25], -1, 0
	s_cmp_lg_u32 s14, 0
	s_cselect_b64 s[26:27], -1, 0
	;; [unrolled: 2-line block ×3, first 2 shown]
	v_mov_b32_e32 v8, s9
	s_mov_b32 s9, 0x7f800000
	s_branch .LBB6_10
.LBB6_4:                                ;   in Loop: Header=BB6_10 Depth=1
	s_or_b64 exec, exec, s[48:49]
	s_orn2_b64 s[48:49], s[2:3], exec
	s_orn2_b64 s[0:1], s[42:43], exec
.LBB6_5:                                ;   in Loop: Header=BB6_10 Depth=1
	s_or_b64 exec, exec, s[46:47]
	s_orn2_b64 s[2:3], s[48:49], exec
	s_orn2_b64 s[0:1], s[0:1], exec
.LBB6_6:                                ;   in Loop: Header=BB6_10 Depth=1
	s_or_b64 exec, exec, s[44:45]
	s_orn2_b64 s[2:3], s[2:3], exec
	s_orn2_b64 s[0:1], s[0:1], exec
.LBB6_7:                                ;   in Loop: Header=BB6_10 Depth=1
	s_or_b64 exec, exec, s[40:41]
	s_orn2_b64 s[2:3], s[2:3], exec
	s_orn2_b64 s[0:1], s[0:1], exec
.LBB6_8:                                ;   in Loop: Header=BB6_10 Depth=1
	s_or_b64 exec, exec, s[38:39]
	s_andn2_b64 s[34:35], s[34:35], exec
	s_and_b64 s[2:3], s[2:3], exec
	s_or_b64 s[34:35], s[34:35], s[2:3]
	s_andn2_b64 s[2:3], s[30:31], exec
	s_and_b64 s[0:1], s[0:1], exec
	s_or_b64 s[30:31], s[2:3], s[0:1]
.LBB6_9:                                ;   in Loop: Header=BB6_10 Depth=1
	s_or_b64 exec, exec, s[36:37]
	s_and_b64 s[0:1], exec, s[30:31]
	s_or_b64 s[22:23], s[0:1], s[22:23]
	s_andn2_b64 s[0:1], s[28:29], exec
	s_and_b64 s[2:3], s[34:35], exec
	s_or_b64 s[28:29], s[0:1], s[2:3]
	s_andn2_b64 exec, exec, s[22:23]
	s_cbranch_execz .LBB6_27
.LBB6_10:                               ; =>This Inner Loop Header: Depth=1
	v_ashrrev_i32_e32 v1, 31, v0
	v_lshlrev_b64 v[3:4], 2, v[0:1]
	v_mov_b32_e32 v9, 4
	v_add_co_u32_e32 v1, vcc, s8, v3
	v_addc_co_u32_e32 v2, vcc, v8, v4, vcc
	global_load_dword v10, v[1:2], off
	s_or_b64 s[34:35], s[34:35], exec
	s_or_b64 s[30:31], s[30:31], exec
	s_waitcnt vmcnt(0)
	v_subrev_u32_e32 v11, s12, v10
	v_cmp_lt_i32_e32 vcc, -1, v11
	v_cmp_gt_i32_e64 s[0:1], s17, v11
	s_and_b64 s[0:1], vcc, s[0:1]
	s_and_saveexec_b64 s[36:37], s[0:1]
	s_cbranch_execz .LBB6_9
; %bb.11:                               ;   in Loop: Header=BB6_10 Depth=1
	v_cmp_le_i32_e64 s[42:43], v0, v6
	v_cmp_gt_i32_e32 vcc, v0, v6
	v_mov_b32_e32 v9, 4
	s_mov_b64 s[40:41], s[42:43]
	s_and_saveexec_b64 s[38:39], vcc
	s_cbranch_execz .LBB6_13
; %bb.12:                               ;   in Loop: Header=BB6_10 Depth=1
	v_mov_b32_e32 v9, s11
	v_add_co_u32_e32 v12, vcc, s10, v3
	v_addc_co_u32_e32 v13, vcc, v9, v4, vcc
	global_load_dwordx2 v[12:13], v[12:13], off offset:-4
	v_mov_b32_e32 v9, 5
	s_waitcnt vmcnt(0)
	v_subrev_u32_e32 v14, s12, v12
	v_cmp_lt_i32_e64 s[0:1], -1, v14
	v_cmp_gt_i32_e64 s[2:3], s17, v14
	s_and_b64 s[0:1], s[0:1], s[2:3]
	v_cmp_ne_u32_e32 vcc, v13, v12
	s_xor_b64 s[0:1], s[0:1], -1
	s_or_b64 s[0:1], vcc, s[0:1]
	s_andn2_b64 s[2:3], s[42:43], exec
	s_and_b64 s[0:1], s[0:1], exec
	s_or_b64 s[40:41], s[2:3], s[0:1]
.LBB6_13:                               ;   in Loop: Header=BB6_10 Depth=1
	s_or_b64 exec, exec, s[38:39]
	s_mov_b64 s[0:1], -1
	s_mov_b64 s[2:3], -1
	s_and_saveexec_b64 s[38:39], s[40:41]
	s_cbranch_execz .LBB6_8
; %bb.14:                               ;   in Loop: Header=BB6_10 Depth=1
	v_mov_b32_e32 v9, s21
	v_add_co_u32_e32 v3, vcc, s20, v3
	v_addc_co_u32_e32 v4, vcc, v9, v4, vcc
	global_load_dword v3, v[3:4], off
	v_mov_b32_e32 v9, 1
	s_waitcnt vmcnt(0)
	v_cmp_neq_f32_e32 vcc, s9, v3
	s_and_saveexec_b64 s[40:41], vcc
	s_cbranch_execz .LBB6_7
; %bb.15:                               ;   in Loop: Header=BB6_10 Depth=1
	v_cmp_o_f32_e32 vcc, v3, v3
	v_mov_b32_e32 v9, 2
	s_and_saveexec_b64 s[44:45], vcc
	s_cbranch_execz .LBB6_6
; %bb.16:                               ;   in Loop: Header=BB6_10 Depth=1
	s_and_b64 vcc, exec, s[24:25]
	s_cbranch_vccz .LBB6_19
; %bb.17:                               ;   in Loop: Header=BB6_10 Depth=1
	s_and_b64 vcc, exec, s[26:27]
	s_cbranch_vccz .LBB6_20
; %bb.18:                               ;   in Loop: Header=BB6_10 Depth=1
	v_cmp_le_i32_e32 vcc, v5, v11
	s_mov_b32 s13, 7
	s_and_b64 s[2:3], vcc, exec
	s_cbranch_execz .LBB6_21
	s_branch .LBB6_22
.LBB6_19:                               ;   in Loop: Header=BB6_10 Depth=1
	s_mov_b32 s13, 2
	s_branch .LBB6_22
.LBB6_20:                               ;   in Loop: Header=BB6_10 Depth=1
	s_mov_b64 s[2:3], 0
	s_mov_b32 s13, 2
.LBB6_21:                               ;   in Loop: Header=BB6_10 Depth=1
	v_cmp_ge_i32_e32 vcc, v5, v11
	s_andn2_b64 s[2:3], s[2:3], exec
	s_and_b64 s[46:47], vcc, exec
	s_mov_b32 s13, 7
	s_or_b64 s[2:3], s[2:3], s[46:47]
.LBB6_22:                               ;   in Loop: Header=BB6_10 Depth=1
	v_mov_b32_e32 v9, s13
	s_mov_b64 s[48:49], -1
	s_and_saveexec_b64 s[46:47], s[2:3]
	s_cbranch_execz .LBB6_5
; %bb.23:                               ;   in Loop: Header=BB6_10 Depth=1
	s_nor_b64 s[2:3], s[14:15], s[42:43]
	s_mov_b64 s[42:43], -1
	v_mov_b32_e32 v9, s13
	s_and_saveexec_b64 s[48:49], s[2:3]
	s_cbranch_execz .LBB6_25
; %bb.24:                               ;   in Loop: Header=BB6_10 Depth=1
	global_load_dword v1, v[1:2], off offset:-4
	v_mov_b32_e32 v9, 6
	s_waitcnt vmcnt(0)
	v_subrev_u32_e32 v2, s12, v1
	v_cmp_lt_i32_e64 s[0:1], -1, v2
	v_cmp_gt_i32_e64 s[2:3], s17, v2
	s_and_b64 s[0:1], s[0:1], s[2:3]
	v_cmp_gt_i32_e32 vcc, v10, v1
	s_xor_b64 s[0:1], s[0:1], -1
	s_or_b64 s[0:1], vcc, s[0:1]
	s_orn2_b64 s[0:1], s[0:1], exec
.LBB6_25:                               ;   in Loop: Header=BB6_10 Depth=1
	s_or_b64 exec, exec, s[48:49]
	s_mov_b64 s[2:3], -1
	s_and_saveexec_b64 s[48:49], s[0:1]
	s_cbranch_execz .LBB6_4
; %bb.26:                               ;   in Loop: Header=BB6_10 Depth=1
	v_add_u32_e32 v0, 64, v0
	v_cmp_ge_i32_e32 vcc, v0, v7
	s_xor_b64 s[2:3], exec, -1
	s_orn2_b64 s[42:43], vcc, exec
	s_branch .LBB6_4
.LBB6_27:
	s_or_b64 exec, exec, s[22:23]
	s_and_b64 s[0:1], s[28:29], exec
.LBB6_28:
	s_or_b64 exec, exec, s[18:19]
	s_orn2_b64 s[8:9], s[0:1], exec
.LBB6_29:
	s_or_b64 exec, exec, s[6:7]
	s_and_b64 exec, exec, s[8:9]
	s_cbranch_execz .LBB6_31
; %bb.30:
	s_load_dwordx2 s[0:1], s[4:5], 0x40
	v_mov_b32_e32 v0, 0
	s_waitcnt lgkmcnt(0)
	global_store_dword v0, v9, s[0:1]
.LBB6_31:
	s_endpgm
	.section	.rodata,"a",@progbits
	.p2align	6, 0x0
	.amdhsa_kernel _ZN9rocsparseL23check_matrix_csr_deviceILj256ELj64EfiiEEvT3_S1_T2_PKT1_PKS2_PKS1_S9_21rocsparse_index_base_22rocsparse_matrix_type_20rocsparse_fill_mode_23rocsparse_storage_mode_P22rocsparse_data_status_
		.amdhsa_group_segment_fixed_size 0
		.amdhsa_private_segment_fixed_size 0
		.amdhsa_kernarg_size 72
		.amdhsa_user_sgpr_count 6
		.amdhsa_user_sgpr_private_segment_buffer 1
		.amdhsa_user_sgpr_dispatch_ptr 0
		.amdhsa_user_sgpr_queue_ptr 0
		.amdhsa_user_sgpr_kernarg_segment_ptr 1
		.amdhsa_user_sgpr_dispatch_id 0
		.amdhsa_user_sgpr_flat_scratch_init 0
		.amdhsa_user_sgpr_private_segment_size 0
		.amdhsa_uses_dynamic_stack 0
		.amdhsa_system_sgpr_private_segment_wavefront_offset 0
		.amdhsa_system_sgpr_workgroup_id_x 1
		.amdhsa_system_sgpr_workgroup_id_y 0
		.amdhsa_system_sgpr_workgroup_id_z 0
		.amdhsa_system_sgpr_workgroup_info 0
		.amdhsa_system_vgpr_workitem_id 0
		.amdhsa_next_free_vgpr 15
		.amdhsa_next_free_sgpr 50
		.amdhsa_reserve_vcc 1
		.amdhsa_reserve_flat_scratch 0
		.amdhsa_float_round_mode_32 0
		.amdhsa_float_round_mode_16_64 0
		.amdhsa_float_denorm_mode_32 3
		.amdhsa_float_denorm_mode_16_64 3
		.amdhsa_dx10_clamp 1
		.amdhsa_ieee_mode 1
		.amdhsa_fp16_overflow 0
		.amdhsa_exception_fp_ieee_invalid_op 0
		.amdhsa_exception_fp_denorm_src 0
		.amdhsa_exception_fp_ieee_div_zero 0
		.amdhsa_exception_fp_ieee_overflow 0
		.amdhsa_exception_fp_ieee_underflow 0
		.amdhsa_exception_fp_ieee_inexact 0
		.amdhsa_exception_int_div_zero 0
	.end_amdhsa_kernel
	.section	.text._ZN9rocsparseL23check_matrix_csr_deviceILj256ELj64EfiiEEvT3_S1_T2_PKT1_PKS2_PKS1_S9_21rocsparse_index_base_22rocsparse_matrix_type_20rocsparse_fill_mode_23rocsparse_storage_mode_P22rocsparse_data_status_,"axG",@progbits,_ZN9rocsparseL23check_matrix_csr_deviceILj256ELj64EfiiEEvT3_S1_T2_PKT1_PKS2_PKS1_S9_21rocsparse_index_base_22rocsparse_matrix_type_20rocsparse_fill_mode_23rocsparse_storage_mode_P22rocsparse_data_status_,comdat
.Lfunc_end6:
	.size	_ZN9rocsparseL23check_matrix_csr_deviceILj256ELj64EfiiEEvT3_S1_T2_PKT1_PKS2_PKS1_S9_21rocsparse_index_base_22rocsparse_matrix_type_20rocsparse_fill_mode_23rocsparse_storage_mode_P22rocsparse_data_status_, .Lfunc_end6-_ZN9rocsparseL23check_matrix_csr_deviceILj256ELj64EfiiEEvT3_S1_T2_PKT1_PKS2_PKS1_S9_21rocsparse_index_base_22rocsparse_matrix_type_20rocsparse_fill_mode_23rocsparse_storage_mode_P22rocsparse_data_status_
                                        ; -- End function
	.set _ZN9rocsparseL23check_matrix_csr_deviceILj256ELj64EfiiEEvT3_S1_T2_PKT1_PKS2_PKS1_S9_21rocsparse_index_base_22rocsparse_matrix_type_20rocsparse_fill_mode_23rocsparse_storage_mode_P22rocsparse_data_status_.num_vgpr, 15
	.set _ZN9rocsparseL23check_matrix_csr_deviceILj256ELj64EfiiEEvT3_S1_T2_PKT1_PKS2_PKS1_S9_21rocsparse_index_base_22rocsparse_matrix_type_20rocsparse_fill_mode_23rocsparse_storage_mode_P22rocsparse_data_status_.num_agpr, 0
	.set _ZN9rocsparseL23check_matrix_csr_deviceILj256ELj64EfiiEEvT3_S1_T2_PKT1_PKS2_PKS1_S9_21rocsparse_index_base_22rocsparse_matrix_type_20rocsparse_fill_mode_23rocsparse_storage_mode_P22rocsparse_data_status_.numbered_sgpr, 50
	.set _ZN9rocsparseL23check_matrix_csr_deviceILj256ELj64EfiiEEvT3_S1_T2_PKT1_PKS2_PKS1_S9_21rocsparse_index_base_22rocsparse_matrix_type_20rocsparse_fill_mode_23rocsparse_storage_mode_P22rocsparse_data_status_.num_named_barrier, 0
	.set _ZN9rocsparseL23check_matrix_csr_deviceILj256ELj64EfiiEEvT3_S1_T2_PKT1_PKS2_PKS1_S9_21rocsparse_index_base_22rocsparse_matrix_type_20rocsparse_fill_mode_23rocsparse_storage_mode_P22rocsparse_data_status_.private_seg_size, 0
	.set _ZN9rocsparseL23check_matrix_csr_deviceILj256ELj64EfiiEEvT3_S1_T2_PKT1_PKS2_PKS1_S9_21rocsparse_index_base_22rocsparse_matrix_type_20rocsparse_fill_mode_23rocsparse_storage_mode_P22rocsparse_data_status_.uses_vcc, 1
	.set _ZN9rocsparseL23check_matrix_csr_deviceILj256ELj64EfiiEEvT3_S1_T2_PKT1_PKS2_PKS1_S9_21rocsparse_index_base_22rocsparse_matrix_type_20rocsparse_fill_mode_23rocsparse_storage_mode_P22rocsparse_data_status_.uses_flat_scratch, 0
	.set _ZN9rocsparseL23check_matrix_csr_deviceILj256ELj64EfiiEEvT3_S1_T2_PKT1_PKS2_PKS1_S9_21rocsparse_index_base_22rocsparse_matrix_type_20rocsparse_fill_mode_23rocsparse_storage_mode_P22rocsparse_data_status_.has_dyn_sized_stack, 0
	.set _ZN9rocsparseL23check_matrix_csr_deviceILj256ELj64EfiiEEvT3_S1_T2_PKT1_PKS2_PKS1_S9_21rocsparse_index_base_22rocsparse_matrix_type_20rocsparse_fill_mode_23rocsparse_storage_mode_P22rocsparse_data_status_.has_recursion, 0
	.set _ZN9rocsparseL23check_matrix_csr_deviceILj256ELj64EfiiEEvT3_S1_T2_PKT1_PKS2_PKS1_S9_21rocsparse_index_base_22rocsparse_matrix_type_20rocsparse_fill_mode_23rocsparse_storage_mode_P22rocsparse_data_status_.has_indirect_call, 0
	.section	.AMDGPU.csdata,"",@progbits
; Kernel info:
; codeLenInByte = 836
; TotalNumSgprs: 54
; NumVgprs: 15
; ScratchSize: 0
; MemoryBound: 0
; FloatMode: 240
; IeeeMode: 1
; LDSByteSize: 0 bytes/workgroup (compile time only)
; SGPRBlocks: 6
; VGPRBlocks: 3
; NumSGPRsForWavesPerEU: 54
; NumVGPRsForWavesPerEU: 15
; Occupancy: 10
; WaveLimiterHint : 0
; COMPUTE_PGM_RSRC2:SCRATCH_EN: 0
; COMPUTE_PGM_RSRC2:USER_SGPR: 6
; COMPUTE_PGM_RSRC2:TRAP_HANDLER: 0
; COMPUTE_PGM_RSRC2:TGID_X_EN: 1
; COMPUTE_PGM_RSRC2:TGID_Y_EN: 0
; COMPUTE_PGM_RSRC2:TGID_Z_EN: 0
; COMPUTE_PGM_RSRC2:TIDIG_COMP_CNT: 0
	.section	.text._ZN9rocsparseL23check_matrix_csr_deviceILj256ELj128EfiiEEvT3_S1_T2_PKT1_PKS2_PKS1_S9_21rocsparse_index_base_22rocsparse_matrix_type_20rocsparse_fill_mode_23rocsparse_storage_mode_P22rocsparse_data_status_,"axG",@progbits,_ZN9rocsparseL23check_matrix_csr_deviceILj256ELj128EfiiEEvT3_S1_T2_PKT1_PKS2_PKS1_S9_21rocsparse_index_base_22rocsparse_matrix_type_20rocsparse_fill_mode_23rocsparse_storage_mode_P22rocsparse_data_status_,comdat
	.globl	_ZN9rocsparseL23check_matrix_csr_deviceILj256ELj128EfiiEEvT3_S1_T2_PKT1_PKS2_PKS1_S9_21rocsparse_index_base_22rocsparse_matrix_type_20rocsparse_fill_mode_23rocsparse_storage_mode_P22rocsparse_data_status_ ; -- Begin function _ZN9rocsparseL23check_matrix_csr_deviceILj256ELj128EfiiEEvT3_S1_T2_PKT1_PKS2_PKS1_S9_21rocsparse_index_base_22rocsparse_matrix_type_20rocsparse_fill_mode_23rocsparse_storage_mode_P22rocsparse_data_status_
	.p2align	8
	.type	_ZN9rocsparseL23check_matrix_csr_deviceILj256ELj128EfiiEEvT3_S1_T2_PKT1_PKS2_PKS1_S9_21rocsparse_index_base_22rocsparse_matrix_type_20rocsparse_fill_mode_23rocsparse_storage_mode_P22rocsparse_data_status_,@function
_ZN9rocsparseL23check_matrix_csr_deviceILj256ELj128EfiiEEvT3_S1_T2_PKT1_PKS2_PKS1_S9_21rocsparse_index_base_22rocsparse_matrix_type_20rocsparse_fill_mode_23rocsparse_storage_mode_P22rocsparse_data_status_: ; @_ZN9rocsparseL23check_matrix_csr_deviceILj256ELj128EfiiEEvT3_S1_T2_PKT1_PKS2_PKS1_S9_21rocsparse_index_base_22rocsparse_matrix_type_20rocsparse_fill_mode_23rocsparse_storage_mode_P22rocsparse_data_status_
; %bb.0:
	s_load_dwordx2 s[16:17], s[4:5], 0x0
	v_lshl_or_b32 v1, s6, 8, v0
	v_lshrrev_b32_e32 v5, 7, v1
	s_waitcnt lgkmcnt(0)
	v_cmp_gt_i32_e32 vcc, s16, v5
	s_and_saveexec_b64 s[0:1], vcc
	s_cbranch_execz .LBB7_31
; %bb.1:
	s_load_dwordx2 s[0:1], s[4:5], 0x18
	v_lshlrev_b32_e32 v1, 2, v5
	s_mov_b64 s[8:9], -1
	v_mov_b32_e32 v9, 3
	s_waitcnt lgkmcnt(0)
	global_load_dwordx2 v[1:2], v1, s[0:1]
	s_load_dword s0, s[0:1], 0x0
	s_waitcnt vmcnt(0) lgkmcnt(0)
	v_subrev_u32_e32 v7, s0, v2
	v_cmp_lt_i32_e32 vcc, v2, v1
	v_cmp_gt_i32_e64 s[2:3], 0, v7
	v_subrev_u32_e32 v6, s0, v1
	s_or_b64 s[2:3], s[2:3], vcc
	v_cmp_lt_i32_e64 s[0:1], -1, v6
	s_xor_b64 s[2:3], s[2:3], -1
	s_and_b64 s[0:1], s[0:1], s[2:3]
	s_and_saveexec_b64 s[6:7], s[0:1]
	s_cbranch_execz .LBB7_29
; %bb.2:
	v_and_b32_e32 v0, 0x7f, v0
	v_add_u32_e32 v0, v6, v0
	v_cmp_lt_u32_e32 vcc, v0, v7
	s_mov_b64 s[0:1], 0
	v_mov_b32_e32 v9, 3
	s_and_saveexec_b64 s[18:19], vcc
	s_cbranch_execz .LBB7_28
; %bb.3:
	s_load_dwordx8 s[8:15], s[4:5], 0x20
	s_load_dwordx2 s[20:21], s[4:5], 0x10
	s_mov_b64 s[22:23], 0
                                        ; implicit-def: $sgpr28_sgpr29
                                        ; implicit-def: $sgpr30_sgpr31
                                        ; implicit-def: $sgpr34_sgpr35
	s_waitcnt lgkmcnt(0)
	s_cmp_lg_u32 s13, 0
	s_cselect_b64 s[24:25], -1, 0
	s_cmp_lg_u32 s14, 0
	s_cselect_b64 s[26:27], -1, 0
	;; [unrolled: 2-line block ×3, first 2 shown]
	v_mov_b32_e32 v8, s9
	s_mov_b32 s9, 0x7f800000
	s_branch .LBB7_10
.LBB7_4:                                ;   in Loop: Header=BB7_10 Depth=1
	s_or_b64 exec, exec, s[48:49]
	s_orn2_b64 s[48:49], s[2:3], exec
	s_orn2_b64 s[0:1], s[42:43], exec
.LBB7_5:                                ;   in Loop: Header=BB7_10 Depth=1
	s_or_b64 exec, exec, s[46:47]
	s_orn2_b64 s[2:3], s[48:49], exec
	s_orn2_b64 s[0:1], s[0:1], exec
.LBB7_6:                                ;   in Loop: Header=BB7_10 Depth=1
	s_or_b64 exec, exec, s[44:45]
	s_orn2_b64 s[2:3], s[2:3], exec
	s_orn2_b64 s[0:1], s[0:1], exec
.LBB7_7:                                ;   in Loop: Header=BB7_10 Depth=1
	s_or_b64 exec, exec, s[40:41]
	s_orn2_b64 s[2:3], s[2:3], exec
	s_orn2_b64 s[0:1], s[0:1], exec
.LBB7_8:                                ;   in Loop: Header=BB7_10 Depth=1
	s_or_b64 exec, exec, s[38:39]
	s_andn2_b64 s[34:35], s[34:35], exec
	s_and_b64 s[2:3], s[2:3], exec
	s_or_b64 s[34:35], s[34:35], s[2:3]
	s_andn2_b64 s[2:3], s[30:31], exec
	s_and_b64 s[0:1], s[0:1], exec
	s_or_b64 s[30:31], s[2:3], s[0:1]
.LBB7_9:                                ;   in Loop: Header=BB7_10 Depth=1
	s_or_b64 exec, exec, s[36:37]
	s_and_b64 s[0:1], exec, s[30:31]
	s_or_b64 s[22:23], s[0:1], s[22:23]
	s_andn2_b64 s[0:1], s[28:29], exec
	s_and_b64 s[2:3], s[34:35], exec
	s_or_b64 s[28:29], s[0:1], s[2:3]
	s_andn2_b64 exec, exec, s[22:23]
	s_cbranch_execz .LBB7_27
.LBB7_10:                               ; =>This Inner Loop Header: Depth=1
	v_ashrrev_i32_e32 v1, 31, v0
	v_lshlrev_b64 v[3:4], 2, v[0:1]
	v_mov_b32_e32 v9, 4
	v_add_co_u32_e32 v1, vcc, s8, v3
	v_addc_co_u32_e32 v2, vcc, v8, v4, vcc
	global_load_dword v10, v[1:2], off
	s_or_b64 s[34:35], s[34:35], exec
	s_or_b64 s[30:31], s[30:31], exec
	s_waitcnt vmcnt(0)
	v_subrev_u32_e32 v11, s12, v10
	v_cmp_lt_i32_e32 vcc, -1, v11
	v_cmp_gt_i32_e64 s[0:1], s17, v11
	s_and_b64 s[0:1], vcc, s[0:1]
	s_and_saveexec_b64 s[36:37], s[0:1]
	s_cbranch_execz .LBB7_9
; %bb.11:                               ;   in Loop: Header=BB7_10 Depth=1
	v_cmp_le_i32_e64 s[42:43], v0, v6
	v_cmp_gt_i32_e32 vcc, v0, v6
	v_mov_b32_e32 v9, 4
	s_mov_b64 s[40:41], s[42:43]
	s_and_saveexec_b64 s[38:39], vcc
	s_cbranch_execz .LBB7_13
; %bb.12:                               ;   in Loop: Header=BB7_10 Depth=1
	v_mov_b32_e32 v9, s11
	v_add_co_u32_e32 v12, vcc, s10, v3
	v_addc_co_u32_e32 v13, vcc, v9, v4, vcc
	global_load_dwordx2 v[12:13], v[12:13], off offset:-4
	v_mov_b32_e32 v9, 5
	s_waitcnt vmcnt(0)
	v_subrev_u32_e32 v14, s12, v12
	v_cmp_lt_i32_e64 s[0:1], -1, v14
	v_cmp_gt_i32_e64 s[2:3], s17, v14
	s_and_b64 s[0:1], s[0:1], s[2:3]
	v_cmp_ne_u32_e32 vcc, v13, v12
	s_xor_b64 s[0:1], s[0:1], -1
	s_or_b64 s[0:1], vcc, s[0:1]
	s_andn2_b64 s[2:3], s[42:43], exec
	s_and_b64 s[0:1], s[0:1], exec
	s_or_b64 s[40:41], s[2:3], s[0:1]
.LBB7_13:                               ;   in Loop: Header=BB7_10 Depth=1
	s_or_b64 exec, exec, s[38:39]
	s_mov_b64 s[0:1], -1
	s_mov_b64 s[2:3], -1
	s_and_saveexec_b64 s[38:39], s[40:41]
	s_cbranch_execz .LBB7_8
; %bb.14:                               ;   in Loop: Header=BB7_10 Depth=1
	v_mov_b32_e32 v9, s21
	v_add_co_u32_e32 v3, vcc, s20, v3
	v_addc_co_u32_e32 v4, vcc, v9, v4, vcc
	global_load_dword v3, v[3:4], off
	v_mov_b32_e32 v9, 1
	s_waitcnt vmcnt(0)
	v_cmp_neq_f32_e32 vcc, s9, v3
	s_and_saveexec_b64 s[40:41], vcc
	s_cbranch_execz .LBB7_7
; %bb.15:                               ;   in Loop: Header=BB7_10 Depth=1
	v_cmp_o_f32_e32 vcc, v3, v3
	v_mov_b32_e32 v9, 2
	s_and_saveexec_b64 s[44:45], vcc
	s_cbranch_execz .LBB7_6
; %bb.16:                               ;   in Loop: Header=BB7_10 Depth=1
	s_and_b64 vcc, exec, s[24:25]
	s_cbranch_vccz .LBB7_19
; %bb.17:                               ;   in Loop: Header=BB7_10 Depth=1
	s_and_b64 vcc, exec, s[26:27]
	s_cbranch_vccz .LBB7_20
; %bb.18:                               ;   in Loop: Header=BB7_10 Depth=1
	v_cmp_le_i32_e32 vcc, v5, v11
	s_mov_b32 s13, 7
	s_and_b64 s[2:3], vcc, exec
	s_cbranch_execz .LBB7_21
	s_branch .LBB7_22
.LBB7_19:                               ;   in Loop: Header=BB7_10 Depth=1
	s_mov_b32 s13, 2
	s_branch .LBB7_22
.LBB7_20:                               ;   in Loop: Header=BB7_10 Depth=1
	s_mov_b64 s[2:3], 0
	s_mov_b32 s13, 2
.LBB7_21:                               ;   in Loop: Header=BB7_10 Depth=1
	v_cmp_ge_i32_e32 vcc, v5, v11
	s_andn2_b64 s[2:3], s[2:3], exec
	s_and_b64 s[46:47], vcc, exec
	s_mov_b32 s13, 7
	s_or_b64 s[2:3], s[2:3], s[46:47]
.LBB7_22:                               ;   in Loop: Header=BB7_10 Depth=1
	v_mov_b32_e32 v9, s13
	s_mov_b64 s[48:49], -1
	s_and_saveexec_b64 s[46:47], s[2:3]
	s_cbranch_execz .LBB7_5
; %bb.23:                               ;   in Loop: Header=BB7_10 Depth=1
	s_nor_b64 s[2:3], s[14:15], s[42:43]
	s_mov_b64 s[42:43], -1
	v_mov_b32_e32 v9, s13
	s_and_saveexec_b64 s[48:49], s[2:3]
	s_cbranch_execz .LBB7_25
; %bb.24:                               ;   in Loop: Header=BB7_10 Depth=1
	global_load_dword v1, v[1:2], off offset:-4
	v_mov_b32_e32 v9, 6
	s_waitcnt vmcnt(0)
	v_subrev_u32_e32 v2, s12, v1
	v_cmp_lt_i32_e64 s[0:1], -1, v2
	v_cmp_gt_i32_e64 s[2:3], s17, v2
	s_and_b64 s[0:1], s[0:1], s[2:3]
	v_cmp_gt_i32_e32 vcc, v10, v1
	s_xor_b64 s[0:1], s[0:1], -1
	s_or_b64 s[0:1], vcc, s[0:1]
	s_orn2_b64 s[0:1], s[0:1], exec
.LBB7_25:                               ;   in Loop: Header=BB7_10 Depth=1
	s_or_b64 exec, exec, s[48:49]
	s_mov_b64 s[2:3], -1
	s_and_saveexec_b64 s[48:49], s[0:1]
	s_cbranch_execz .LBB7_4
; %bb.26:                               ;   in Loop: Header=BB7_10 Depth=1
	v_add_u32_e32 v0, 0x80, v0
	v_cmp_ge_i32_e32 vcc, v0, v7
	s_xor_b64 s[2:3], exec, -1
	s_orn2_b64 s[42:43], vcc, exec
	s_branch .LBB7_4
.LBB7_27:
	s_or_b64 exec, exec, s[22:23]
	s_and_b64 s[0:1], s[28:29], exec
.LBB7_28:
	s_or_b64 exec, exec, s[18:19]
	s_orn2_b64 s[8:9], s[0:1], exec
.LBB7_29:
	s_or_b64 exec, exec, s[6:7]
	s_and_b64 exec, exec, s[8:9]
	s_cbranch_execz .LBB7_31
; %bb.30:
	s_load_dwordx2 s[0:1], s[4:5], 0x40
	v_mov_b32_e32 v0, 0
	s_waitcnt lgkmcnt(0)
	global_store_dword v0, v9, s[0:1]
.LBB7_31:
	s_endpgm
	.section	.rodata,"a",@progbits
	.p2align	6, 0x0
	.amdhsa_kernel _ZN9rocsparseL23check_matrix_csr_deviceILj256ELj128EfiiEEvT3_S1_T2_PKT1_PKS2_PKS1_S9_21rocsparse_index_base_22rocsparse_matrix_type_20rocsparse_fill_mode_23rocsparse_storage_mode_P22rocsparse_data_status_
		.amdhsa_group_segment_fixed_size 0
		.amdhsa_private_segment_fixed_size 0
		.amdhsa_kernarg_size 72
		.amdhsa_user_sgpr_count 6
		.amdhsa_user_sgpr_private_segment_buffer 1
		.amdhsa_user_sgpr_dispatch_ptr 0
		.amdhsa_user_sgpr_queue_ptr 0
		.amdhsa_user_sgpr_kernarg_segment_ptr 1
		.amdhsa_user_sgpr_dispatch_id 0
		.amdhsa_user_sgpr_flat_scratch_init 0
		.amdhsa_user_sgpr_private_segment_size 0
		.amdhsa_uses_dynamic_stack 0
		.amdhsa_system_sgpr_private_segment_wavefront_offset 0
		.amdhsa_system_sgpr_workgroup_id_x 1
		.amdhsa_system_sgpr_workgroup_id_y 0
		.amdhsa_system_sgpr_workgroup_id_z 0
		.amdhsa_system_sgpr_workgroup_info 0
		.amdhsa_system_vgpr_workitem_id 0
		.amdhsa_next_free_vgpr 15
		.amdhsa_next_free_sgpr 50
		.amdhsa_reserve_vcc 1
		.amdhsa_reserve_flat_scratch 0
		.amdhsa_float_round_mode_32 0
		.amdhsa_float_round_mode_16_64 0
		.amdhsa_float_denorm_mode_32 3
		.amdhsa_float_denorm_mode_16_64 3
		.amdhsa_dx10_clamp 1
		.amdhsa_ieee_mode 1
		.amdhsa_fp16_overflow 0
		.amdhsa_exception_fp_ieee_invalid_op 0
		.amdhsa_exception_fp_denorm_src 0
		.amdhsa_exception_fp_ieee_div_zero 0
		.amdhsa_exception_fp_ieee_overflow 0
		.amdhsa_exception_fp_ieee_underflow 0
		.amdhsa_exception_fp_ieee_inexact 0
		.amdhsa_exception_int_div_zero 0
	.end_amdhsa_kernel
	.section	.text._ZN9rocsparseL23check_matrix_csr_deviceILj256ELj128EfiiEEvT3_S1_T2_PKT1_PKS2_PKS1_S9_21rocsparse_index_base_22rocsparse_matrix_type_20rocsparse_fill_mode_23rocsparse_storage_mode_P22rocsparse_data_status_,"axG",@progbits,_ZN9rocsparseL23check_matrix_csr_deviceILj256ELj128EfiiEEvT3_S1_T2_PKT1_PKS2_PKS1_S9_21rocsparse_index_base_22rocsparse_matrix_type_20rocsparse_fill_mode_23rocsparse_storage_mode_P22rocsparse_data_status_,comdat
.Lfunc_end7:
	.size	_ZN9rocsparseL23check_matrix_csr_deviceILj256ELj128EfiiEEvT3_S1_T2_PKT1_PKS2_PKS1_S9_21rocsparse_index_base_22rocsparse_matrix_type_20rocsparse_fill_mode_23rocsparse_storage_mode_P22rocsparse_data_status_, .Lfunc_end7-_ZN9rocsparseL23check_matrix_csr_deviceILj256ELj128EfiiEEvT3_S1_T2_PKT1_PKS2_PKS1_S9_21rocsparse_index_base_22rocsparse_matrix_type_20rocsparse_fill_mode_23rocsparse_storage_mode_P22rocsparse_data_status_
                                        ; -- End function
	.set _ZN9rocsparseL23check_matrix_csr_deviceILj256ELj128EfiiEEvT3_S1_T2_PKT1_PKS2_PKS1_S9_21rocsparse_index_base_22rocsparse_matrix_type_20rocsparse_fill_mode_23rocsparse_storage_mode_P22rocsparse_data_status_.num_vgpr, 15
	.set _ZN9rocsparseL23check_matrix_csr_deviceILj256ELj128EfiiEEvT3_S1_T2_PKT1_PKS2_PKS1_S9_21rocsparse_index_base_22rocsparse_matrix_type_20rocsparse_fill_mode_23rocsparse_storage_mode_P22rocsparse_data_status_.num_agpr, 0
	.set _ZN9rocsparseL23check_matrix_csr_deviceILj256ELj128EfiiEEvT3_S1_T2_PKT1_PKS2_PKS1_S9_21rocsparse_index_base_22rocsparse_matrix_type_20rocsparse_fill_mode_23rocsparse_storage_mode_P22rocsparse_data_status_.numbered_sgpr, 50
	.set _ZN9rocsparseL23check_matrix_csr_deviceILj256ELj128EfiiEEvT3_S1_T2_PKT1_PKS2_PKS1_S9_21rocsparse_index_base_22rocsparse_matrix_type_20rocsparse_fill_mode_23rocsparse_storage_mode_P22rocsparse_data_status_.num_named_barrier, 0
	.set _ZN9rocsparseL23check_matrix_csr_deviceILj256ELj128EfiiEEvT3_S1_T2_PKT1_PKS2_PKS1_S9_21rocsparse_index_base_22rocsparse_matrix_type_20rocsparse_fill_mode_23rocsparse_storage_mode_P22rocsparse_data_status_.private_seg_size, 0
	.set _ZN9rocsparseL23check_matrix_csr_deviceILj256ELj128EfiiEEvT3_S1_T2_PKT1_PKS2_PKS1_S9_21rocsparse_index_base_22rocsparse_matrix_type_20rocsparse_fill_mode_23rocsparse_storage_mode_P22rocsparse_data_status_.uses_vcc, 1
	.set _ZN9rocsparseL23check_matrix_csr_deviceILj256ELj128EfiiEEvT3_S1_T2_PKT1_PKS2_PKS1_S9_21rocsparse_index_base_22rocsparse_matrix_type_20rocsparse_fill_mode_23rocsparse_storage_mode_P22rocsparse_data_status_.uses_flat_scratch, 0
	.set _ZN9rocsparseL23check_matrix_csr_deviceILj256ELj128EfiiEEvT3_S1_T2_PKT1_PKS2_PKS1_S9_21rocsparse_index_base_22rocsparse_matrix_type_20rocsparse_fill_mode_23rocsparse_storage_mode_P22rocsparse_data_status_.has_dyn_sized_stack, 0
	.set _ZN9rocsparseL23check_matrix_csr_deviceILj256ELj128EfiiEEvT3_S1_T2_PKT1_PKS2_PKS1_S9_21rocsparse_index_base_22rocsparse_matrix_type_20rocsparse_fill_mode_23rocsparse_storage_mode_P22rocsparse_data_status_.has_recursion, 0
	.set _ZN9rocsparseL23check_matrix_csr_deviceILj256ELj128EfiiEEvT3_S1_T2_PKT1_PKS2_PKS1_S9_21rocsparse_index_base_22rocsparse_matrix_type_20rocsparse_fill_mode_23rocsparse_storage_mode_P22rocsparse_data_status_.has_indirect_call, 0
	.section	.AMDGPU.csdata,"",@progbits
; Kernel info:
; codeLenInByte = 844
; TotalNumSgprs: 54
; NumVgprs: 15
; ScratchSize: 0
; MemoryBound: 0
; FloatMode: 240
; IeeeMode: 1
; LDSByteSize: 0 bytes/workgroup (compile time only)
; SGPRBlocks: 6
; VGPRBlocks: 3
; NumSGPRsForWavesPerEU: 54
; NumVGPRsForWavesPerEU: 15
; Occupancy: 10
; WaveLimiterHint : 0
; COMPUTE_PGM_RSRC2:SCRATCH_EN: 0
; COMPUTE_PGM_RSRC2:USER_SGPR: 6
; COMPUTE_PGM_RSRC2:TRAP_HANDLER: 0
; COMPUTE_PGM_RSRC2:TGID_X_EN: 1
; COMPUTE_PGM_RSRC2:TGID_Y_EN: 0
; COMPUTE_PGM_RSRC2:TGID_Z_EN: 0
; COMPUTE_PGM_RSRC2:TIDIG_COMP_CNT: 0
	.section	.text._ZN9rocsparseL23check_matrix_csr_deviceILj256ELj256EfiiEEvT3_S1_T2_PKT1_PKS2_PKS1_S9_21rocsparse_index_base_22rocsparse_matrix_type_20rocsparse_fill_mode_23rocsparse_storage_mode_P22rocsparse_data_status_,"axG",@progbits,_ZN9rocsparseL23check_matrix_csr_deviceILj256ELj256EfiiEEvT3_S1_T2_PKT1_PKS2_PKS1_S9_21rocsparse_index_base_22rocsparse_matrix_type_20rocsparse_fill_mode_23rocsparse_storage_mode_P22rocsparse_data_status_,comdat
	.globl	_ZN9rocsparseL23check_matrix_csr_deviceILj256ELj256EfiiEEvT3_S1_T2_PKT1_PKS2_PKS1_S9_21rocsparse_index_base_22rocsparse_matrix_type_20rocsparse_fill_mode_23rocsparse_storage_mode_P22rocsparse_data_status_ ; -- Begin function _ZN9rocsparseL23check_matrix_csr_deviceILj256ELj256EfiiEEvT3_S1_T2_PKT1_PKS2_PKS1_S9_21rocsparse_index_base_22rocsparse_matrix_type_20rocsparse_fill_mode_23rocsparse_storage_mode_P22rocsparse_data_status_
	.p2align	8
	.type	_ZN9rocsparseL23check_matrix_csr_deviceILj256ELj256EfiiEEvT3_S1_T2_PKT1_PKS2_PKS1_S9_21rocsparse_index_base_22rocsparse_matrix_type_20rocsparse_fill_mode_23rocsparse_storage_mode_P22rocsparse_data_status_,@function
_ZN9rocsparseL23check_matrix_csr_deviceILj256ELj256EfiiEEvT3_S1_T2_PKT1_PKS2_PKS1_S9_21rocsparse_index_base_22rocsparse_matrix_type_20rocsparse_fill_mode_23rocsparse_storage_mode_P22rocsparse_data_status_: ; @_ZN9rocsparseL23check_matrix_csr_deviceILj256ELj256EfiiEEvT3_S1_T2_PKT1_PKS2_PKS1_S9_21rocsparse_index_base_22rocsparse_matrix_type_20rocsparse_fill_mode_23rocsparse_storage_mode_P22rocsparse_data_status_
; %bb.0:
	s_load_dwordx2 s[16:17], s[4:5], 0x0
	s_and_b32 s33, s6, 0xffffff
	s_waitcnt lgkmcnt(0)
	s_cmp_lt_i32 s33, s16
	s_cselect_b64 s[0:1], -1, 0
	s_and_saveexec_b64 s[2:3], s[0:1]
	s_cbranch_execz .LBB8_31
; %bb.1:
	s_load_dwordx2 s[0:1], s[4:5], 0x18
	v_lshlrev_b32_e64 v1, 2, s33
	s_mov_b64 s[8:9], -1
	v_mov_b32_e32 v8, 3
	s_waitcnt lgkmcnt(0)
	global_load_dwordx2 v[1:2], v1, s[0:1]
	s_load_dword s0, s[0:1], 0x0
	s_waitcnt vmcnt(0) lgkmcnt(0)
	v_subrev_u32_e32 v6, s0, v2
	v_cmp_lt_i32_e32 vcc, v2, v1
	v_cmp_gt_i32_e64 s[2:3], 0, v6
	v_subrev_u32_e32 v5, s0, v1
	s_or_b64 s[2:3], s[2:3], vcc
	v_cmp_lt_i32_e64 s[0:1], -1, v5
	s_xor_b64 s[2:3], s[2:3], -1
	s_and_b64 s[0:1], s[0:1], s[2:3]
	s_and_saveexec_b64 s[6:7], s[0:1]
	s_cbranch_execz .LBB8_29
; %bb.2:
	v_add_u32_e32 v0, v5, v0
	v_cmp_lt_u32_e32 vcc, v0, v6
	s_mov_b64 s[0:1], 0
	v_mov_b32_e32 v8, 3
	s_and_saveexec_b64 s[18:19], vcc
	s_cbranch_execz .LBB8_28
; %bb.3:
	s_load_dwordx8 s[8:15], s[4:5], 0x20
	s_load_dwordx2 s[20:21], s[4:5], 0x10
	s_mov_b64 s[22:23], 0
                                        ; implicit-def: $sgpr28_sgpr29
                                        ; implicit-def: $sgpr30_sgpr31
                                        ; implicit-def: $sgpr34_sgpr35
	s_waitcnt lgkmcnt(0)
	s_cmp_lg_u32 s13, 0
	s_cselect_b64 s[24:25], -1, 0
	s_cmp_lg_u32 s14, 0
	s_cselect_b64 s[26:27], -1, 0
	;; [unrolled: 2-line block ×3, first 2 shown]
	v_mov_b32_e32 v7, s9
	s_mov_b32 s9, 0x7f800000
	s_branch .LBB8_10
.LBB8_4:                                ;   in Loop: Header=BB8_10 Depth=1
	s_or_b64 exec, exec, s[48:49]
	s_orn2_b64 s[48:49], s[2:3], exec
	s_orn2_b64 s[0:1], s[42:43], exec
.LBB8_5:                                ;   in Loop: Header=BB8_10 Depth=1
	s_or_b64 exec, exec, s[46:47]
	s_orn2_b64 s[2:3], s[48:49], exec
	s_orn2_b64 s[0:1], s[0:1], exec
.LBB8_6:                                ;   in Loop: Header=BB8_10 Depth=1
	s_or_b64 exec, exec, s[44:45]
	s_orn2_b64 s[2:3], s[2:3], exec
	s_orn2_b64 s[0:1], s[0:1], exec
.LBB8_7:                                ;   in Loop: Header=BB8_10 Depth=1
	s_or_b64 exec, exec, s[40:41]
	s_orn2_b64 s[2:3], s[2:3], exec
	s_orn2_b64 s[0:1], s[0:1], exec
.LBB8_8:                                ;   in Loop: Header=BB8_10 Depth=1
	s_or_b64 exec, exec, s[38:39]
	s_andn2_b64 s[34:35], s[34:35], exec
	s_and_b64 s[2:3], s[2:3], exec
	s_or_b64 s[34:35], s[34:35], s[2:3]
	s_andn2_b64 s[2:3], s[30:31], exec
	s_and_b64 s[0:1], s[0:1], exec
	s_or_b64 s[30:31], s[2:3], s[0:1]
.LBB8_9:                                ;   in Loop: Header=BB8_10 Depth=1
	s_or_b64 exec, exec, s[36:37]
	s_and_b64 s[0:1], exec, s[30:31]
	s_or_b64 s[22:23], s[0:1], s[22:23]
	s_andn2_b64 s[0:1], s[28:29], exec
	s_and_b64 s[2:3], s[34:35], exec
	s_or_b64 s[28:29], s[0:1], s[2:3]
	s_andn2_b64 exec, exec, s[22:23]
	s_cbranch_execz .LBB8_27
.LBB8_10:                               ; =>This Inner Loop Header: Depth=1
	v_ashrrev_i32_e32 v1, 31, v0
	v_lshlrev_b64 v[3:4], 2, v[0:1]
	v_mov_b32_e32 v8, 4
	v_add_co_u32_e32 v1, vcc, s8, v3
	v_addc_co_u32_e32 v2, vcc, v7, v4, vcc
	global_load_dword v9, v[1:2], off
	s_or_b64 s[34:35], s[34:35], exec
	s_or_b64 s[30:31], s[30:31], exec
	s_waitcnt vmcnt(0)
	v_subrev_u32_e32 v10, s12, v9
	v_cmp_lt_i32_e32 vcc, -1, v10
	v_cmp_gt_i32_e64 s[0:1], s17, v10
	s_and_b64 s[0:1], vcc, s[0:1]
	s_and_saveexec_b64 s[36:37], s[0:1]
	s_cbranch_execz .LBB8_9
; %bb.11:                               ;   in Loop: Header=BB8_10 Depth=1
	v_cmp_le_i32_e64 s[42:43], v0, v5
	v_cmp_gt_i32_e32 vcc, v0, v5
	v_mov_b32_e32 v8, 4
	s_mov_b64 s[40:41], s[42:43]
	s_and_saveexec_b64 s[38:39], vcc
	s_cbranch_execz .LBB8_13
; %bb.12:                               ;   in Loop: Header=BB8_10 Depth=1
	v_mov_b32_e32 v8, s11
	v_add_co_u32_e32 v11, vcc, s10, v3
	v_addc_co_u32_e32 v12, vcc, v8, v4, vcc
	global_load_dwordx2 v[11:12], v[11:12], off offset:-4
	v_mov_b32_e32 v8, 5
	s_waitcnt vmcnt(0)
	v_subrev_u32_e32 v13, s12, v11
	v_cmp_lt_i32_e64 s[0:1], -1, v13
	v_cmp_gt_i32_e64 s[2:3], s17, v13
	s_and_b64 s[0:1], s[0:1], s[2:3]
	v_cmp_ne_u32_e32 vcc, v12, v11
	s_xor_b64 s[0:1], s[0:1], -1
	s_or_b64 s[0:1], vcc, s[0:1]
	s_andn2_b64 s[2:3], s[42:43], exec
	s_and_b64 s[0:1], s[0:1], exec
	s_or_b64 s[40:41], s[2:3], s[0:1]
.LBB8_13:                               ;   in Loop: Header=BB8_10 Depth=1
	s_or_b64 exec, exec, s[38:39]
	s_mov_b64 s[0:1], -1
	s_mov_b64 s[2:3], -1
	s_and_saveexec_b64 s[38:39], s[40:41]
	s_cbranch_execz .LBB8_8
; %bb.14:                               ;   in Loop: Header=BB8_10 Depth=1
	v_mov_b32_e32 v8, s21
	v_add_co_u32_e32 v3, vcc, s20, v3
	v_addc_co_u32_e32 v4, vcc, v8, v4, vcc
	global_load_dword v3, v[3:4], off
	v_mov_b32_e32 v8, 1
	s_waitcnt vmcnt(0)
	v_cmp_neq_f32_e32 vcc, s9, v3
	s_and_saveexec_b64 s[40:41], vcc
	s_cbranch_execz .LBB8_7
; %bb.15:                               ;   in Loop: Header=BB8_10 Depth=1
	v_cmp_o_f32_e32 vcc, v3, v3
	v_mov_b32_e32 v8, 2
	s_and_saveexec_b64 s[44:45], vcc
	s_cbranch_execz .LBB8_6
; %bb.16:                               ;   in Loop: Header=BB8_10 Depth=1
	s_and_b64 vcc, exec, s[24:25]
	s_cbranch_vccz .LBB8_19
; %bb.17:                               ;   in Loop: Header=BB8_10 Depth=1
	s_and_b64 vcc, exec, s[26:27]
	s_cbranch_vccz .LBB8_20
; %bb.18:                               ;   in Loop: Header=BB8_10 Depth=1
	v_cmp_le_i32_e32 vcc, s33, v10
	s_mov_b32 s13, 7
	s_and_b64 s[2:3], vcc, exec
	s_cbranch_execz .LBB8_21
	s_branch .LBB8_22
.LBB8_19:                               ;   in Loop: Header=BB8_10 Depth=1
	s_mov_b32 s13, 2
	s_branch .LBB8_22
.LBB8_20:                               ;   in Loop: Header=BB8_10 Depth=1
	s_mov_b64 s[2:3], 0
	s_mov_b32 s13, 2
.LBB8_21:                               ;   in Loop: Header=BB8_10 Depth=1
	v_cmp_ge_i32_e32 vcc, s33, v10
	s_andn2_b64 s[2:3], s[2:3], exec
	s_and_b64 s[46:47], vcc, exec
	s_mov_b32 s13, 7
	s_or_b64 s[2:3], s[2:3], s[46:47]
.LBB8_22:                               ;   in Loop: Header=BB8_10 Depth=1
	v_mov_b32_e32 v8, s13
	s_mov_b64 s[48:49], -1
	s_and_saveexec_b64 s[46:47], s[2:3]
	s_cbranch_execz .LBB8_5
; %bb.23:                               ;   in Loop: Header=BB8_10 Depth=1
	s_nor_b64 s[2:3], s[14:15], s[42:43]
	s_mov_b64 s[42:43], -1
	v_mov_b32_e32 v8, s13
	s_and_saveexec_b64 s[48:49], s[2:3]
	s_cbranch_execz .LBB8_25
; %bb.24:                               ;   in Loop: Header=BB8_10 Depth=1
	global_load_dword v1, v[1:2], off offset:-4
	v_mov_b32_e32 v8, 6
	s_waitcnt vmcnt(0)
	v_subrev_u32_e32 v2, s12, v1
	v_cmp_lt_i32_e64 s[0:1], -1, v2
	v_cmp_gt_i32_e64 s[2:3], s17, v2
	s_and_b64 s[0:1], s[0:1], s[2:3]
	v_cmp_gt_i32_e32 vcc, v9, v1
	s_xor_b64 s[0:1], s[0:1], -1
	s_or_b64 s[0:1], vcc, s[0:1]
	s_orn2_b64 s[0:1], s[0:1], exec
.LBB8_25:                               ;   in Loop: Header=BB8_10 Depth=1
	s_or_b64 exec, exec, s[48:49]
	s_mov_b64 s[2:3], -1
	s_and_saveexec_b64 s[48:49], s[0:1]
	s_cbranch_execz .LBB8_4
; %bb.26:                               ;   in Loop: Header=BB8_10 Depth=1
	v_add_u32_e32 v0, 0x100, v0
	v_cmp_ge_i32_e32 vcc, v0, v6
	s_xor_b64 s[2:3], exec, -1
	s_orn2_b64 s[42:43], vcc, exec
	s_branch .LBB8_4
.LBB8_27:
	s_or_b64 exec, exec, s[22:23]
	s_and_b64 s[0:1], s[28:29], exec
.LBB8_28:
	s_or_b64 exec, exec, s[18:19]
	s_orn2_b64 s[8:9], s[0:1], exec
.LBB8_29:
	s_or_b64 exec, exec, s[6:7]
	s_and_b64 exec, exec, s[8:9]
	s_cbranch_execz .LBB8_31
; %bb.30:
	s_load_dwordx2 s[0:1], s[4:5], 0x40
	v_mov_b32_e32 v0, 0
	s_waitcnt lgkmcnt(0)
	global_store_dword v0, v8, s[0:1]
.LBB8_31:
	s_endpgm
	.section	.rodata,"a",@progbits
	.p2align	6, 0x0
	.amdhsa_kernel _ZN9rocsparseL23check_matrix_csr_deviceILj256ELj256EfiiEEvT3_S1_T2_PKT1_PKS2_PKS1_S9_21rocsparse_index_base_22rocsparse_matrix_type_20rocsparse_fill_mode_23rocsparse_storage_mode_P22rocsparse_data_status_
		.amdhsa_group_segment_fixed_size 0
		.amdhsa_private_segment_fixed_size 0
		.amdhsa_kernarg_size 72
		.amdhsa_user_sgpr_count 6
		.amdhsa_user_sgpr_private_segment_buffer 1
		.amdhsa_user_sgpr_dispatch_ptr 0
		.amdhsa_user_sgpr_queue_ptr 0
		.amdhsa_user_sgpr_kernarg_segment_ptr 1
		.amdhsa_user_sgpr_dispatch_id 0
		.amdhsa_user_sgpr_flat_scratch_init 0
		.amdhsa_user_sgpr_private_segment_size 0
		.amdhsa_uses_dynamic_stack 0
		.amdhsa_system_sgpr_private_segment_wavefront_offset 0
		.amdhsa_system_sgpr_workgroup_id_x 1
		.amdhsa_system_sgpr_workgroup_id_y 0
		.amdhsa_system_sgpr_workgroup_id_z 0
		.amdhsa_system_sgpr_workgroup_info 0
		.amdhsa_system_vgpr_workitem_id 0
		.amdhsa_next_free_vgpr 14
		.amdhsa_next_free_sgpr 50
		.amdhsa_reserve_vcc 1
		.amdhsa_reserve_flat_scratch 0
		.amdhsa_float_round_mode_32 0
		.amdhsa_float_round_mode_16_64 0
		.amdhsa_float_denorm_mode_32 3
		.amdhsa_float_denorm_mode_16_64 3
		.amdhsa_dx10_clamp 1
		.amdhsa_ieee_mode 1
		.amdhsa_fp16_overflow 0
		.amdhsa_exception_fp_ieee_invalid_op 0
		.amdhsa_exception_fp_denorm_src 0
		.amdhsa_exception_fp_ieee_div_zero 0
		.amdhsa_exception_fp_ieee_overflow 0
		.amdhsa_exception_fp_ieee_underflow 0
		.amdhsa_exception_fp_ieee_inexact 0
		.amdhsa_exception_int_div_zero 0
	.end_amdhsa_kernel
	.section	.text._ZN9rocsparseL23check_matrix_csr_deviceILj256ELj256EfiiEEvT3_S1_T2_PKT1_PKS2_PKS1_S9_21rocsparse_index_base_22rocsparse_matrix_type_20rocsparse_fill_mode_23rocsparse_storage_mode_P22rocsparse_data_status_,"axG",@progbits,_ZN9rocsparseL23check_matrix_csr_deviceILj256ELj256EfiiEEvT3_S1_T2_PKT1_PKS2_PKS1_S9_21rocsparse_index_base_22rocsparse_matrix_type_20rocsparse_fill_mode_23rocsparse_storage_mode_P22rocsparse_data_status_,comdat
.Lfunc_end8:
	.size	_ZN9rocsparseL23check_matrix_csr_deviceILj256ELj256EfiiEEvT3_S1_T2_PKT1_PKS2_PKS1_S9_21rocsparse_index_base_22rocsparse_matrix_type_20rocsparse_fill_mode_23rocsparse_storage_mode_P22rocsparse_data_status_, .Lfunc_end8-_ZN9rocsparseL23check_matrix_csr_deviceILj256ELj256EfiiEEvT3_S1_T2_PKT1_PKS2_PKS1_S9_21rocsparse_index_base_22rocsparse_matrix_type_20rocsparse_fill_mode_23rocsparse_storage_mode_P22rocsparse_data_status_
                                        ; -- End function
	.set _ZN9rocsparseL23check_matrix_csr_deviceILj256ELj256EfiiEEvT3_S1_T2_PKT1_PKS2_PKS1_S9_21rocsparse_index_base_22rocsparse_matrix_type_20rocsparse_fill_mode_23rocsparse_storage_mode_P22rocsparse_data_status_.num_vgpr, 14
	.set _ZN9rocsparseL23check_matrix_csr_deviceILj256ELj256EfiiEEvT3_S1_T2_PKT1_PKS2_PKS1_S9_21rocsparse_index_base_22rocsparse_matrix_type_20rocsparse_fill_mode_23rocsparse_storage_mode_P22rocsparse_data_status_.num_agpr, 0
	.set _ZN9rocsparseL23check_matrix_csr_deviceILj256ELj256EfiiEEvT3_S1_T2_PKT1_PKS2_PKS1_S9_21rocsparse_index_base_22rocsparse_matrix_type_20rocsparse_fill_mode_23rocsparse_storage_mode_P22rocsparse_data_status_.numbered_sgpr, 50
	.set _ZN9rocsparseL23check_matrix_csr_deviceILj256ELj256EfiiEEvT3_S1_T2_PKT1_PKS2_PKS1_S9_21rocsparse_index_base_22rocsparse_matrix_type_20rocsparse_fill_mode_23rocsparse_storage_mode_P22rocsparse_data_status_.num_named_barrier, 0
	.set _ZN9rocsparseL23check_matrix_csr_deviceILj256ELj256EfiiEEvT3_S1_T2_PKT1_PKS2_PKS1_S9_21rocsparse_index_base_22rocsparse_matrix_type_20rocsparse_fill_mode_23rocsparse_storage_mode_P22rocsparse_data_status_.private_seg_size, 0
	.set _ZN9rocsparseL23check_matrix_csr_deviceILj256ELj256EfiiEEvT3_S1_T2_PKT1_PKS2_PKS1_S9_21rocsparse_index_base_22rocsparse_matrix_type_20rocsparse_fill_mode_23rocsparse_storage_mode_P22rocsparse_data_status_.uses_vcc, 1
	.set _ZN9rocsparseL23check_matrix_csr_deviceILj256ELj256EfiiEEvT3_S1_T2_PKT1_PKS2_PKS1_S9_21rocsparse_index_base_22rocsparse_matrix_type_20rocsparse_fill_mode_23rocsparse_storage_mode_P22rocsparse_data_status_.uses_flat_scratch, 0
	.set _ZN9rocsparseL23check_matrix_csr_deviceILj256ELj256EfiiEEvT3_S1_T2_PKT1_PKS2_PKS1_S9_21rocsparse_index_base_22rocsparse_matrix_type_20rocsparse_fill_mode_23rocsparse_storage_mode_P22rocsparse_data_status_.has_dyn_sized_stack, 0
	.set _ZN9rocsparseL23check_matrix_csr_deviceILj256ELj256EfiiEEvT3_S1_T2_PKT1_PKS2_PKS1_S9_21rocsparse_index_base_22rocsparse_matrix_type_20rocsparse_fill_mode_23rocsparse_storage_mode_P22rocsparse_data_status_.has_recursion, 0
	.set _ZN9rocsparseL23check_matrix_csr_deviceILj256ELj256EfiiEEvT3_S1_T2_PKT1_PKS2_PKS1_S9_21rocsparse_index_base_22rocsparse_matrix_type_20rocsparse_fill_mode_23rocsparse_storage_mode_P22rocsparse_data_status_.has_indirect_call, 0
	.section	.AMDGPU.csdata,"",@progbits
; Kernel info:
; codeLenInByte = 840
; TotalNumSgprs: 54
; NumVgprs: 14
; ScratchSize: 0
; MemoryBound: 0
; FloatMode: 240
; IeeeMode: 1
; LDSByteSize: 0 bytes/workgroup (compile time only)
; SGPRBlocks: 6
; VGPRBlocks: 3
; NumSGPRsForWavesPerEU: 54
; NumVGPRsForWavesPerEU: 14
; Occupancy: 10
; WaveLimiterHint : 0
; COMPUTE_PGM_RSRC2:SCRATCH_EN: 0
; COMPUTE_PGM_RSRC2:USER_SGPR: 6
; COMPUTE_PGM_RSRC2:TRAP_HANDLER: 0
; COMPUTE_PGM_RSRC2:TGID_X_EN: 1
; COMPUTE_PGM_RSRC2:TGID_Y_EN: 0
; COMPUTE_PGM_RSRC2:TGID_Z_EN: 0
; COMPUTE_PGM_RSRC2:TIDIG_COMP_CNT: 0
	.section	.text._ZN9rocsparseL23check_matrix_csr_deviceILj256ELj4EdiiEEvT3_S1_T2_PKT1_PKS2_PKS1_S9_21rocsparse_index_base_22rocsparse_matrix_type_20rocsparse_fill_mode_23rocsparse_storage_mode_P22rocsparse_data_status_,"axG",@progbits,_ZN9rocsparseL23check_matrix_csr_deviceILj256ELj4EdiiEEvT3_S1_T2_PKT1_PKS2_PKS1_S9_21rocsparse_index_base_22rocsparse_matrix_type_20rocsparse_fill_mode_23rocsparse_storage_mode_P22rocsparse_data_status_,comdat
	.globl	_ZN9rocsparseL23check_matrix_csr_deviceILj256ELj4EdiiEEvT3_S1_T2_PKT1_PKS2_PKS1_S9_21rocsparse_index_base_22rocsparse_matrix_type_20rocsparse_fill_mode_23rocsparse_storage_mode_P22rocsparse_data_status_ ; -- Begin function _ZN9rocsparseL23check_matrix_csr_deviceILj256ELj4EdiiEEvT3_S1_T2_PKT1_PKS2_PKS1_S9_21rocsparse_index_base_22rocsparse_matrix_type_20rocsparse_fill_mode_23rocsparse_storage_mode_P22rocsparse_data_status_
	.p2align	8
	.type	_ZN9rocsparseL23check_matrix_csr_deviceILj256ELj4EdiiEEvT3_S1_T2_PKT1_PKS2_PKS1_S9_21rocsparse_index_base_22rocsparse_matrix_type_20rocsparse_fill_mode_23rocsparse_storage_mode_P22rocsparse_data_status_,@function
_ZN9rocsparseL23check_matrix_csr_deviceILj256ELj4EdiiEEvT3_S1_T2_PKT1_PKS2_PKS1_S9_21rocsparse_index_base_22rocsparse_matrix_type_20rocsparse_fill_mode_23rocsparse_storage_mode_P22rocsparse_data_status_: ; @_ZN9rocsparseL23check_matrix_csr_deviceILj256ELj4EdiiEEvT3_S1_T2_PKT1_PKS2_PKS1_S9_21rocsparse_index_base_22rocsparse_matrix_type_20rocsparse_fill_mode_23rocsparse_storage_mode_P22rocsparse_data_status_
; %bb.0:
	s_load_dwordx2 s[16:17], s[4:5], 0x0
	v_lshl_or_b32 v1, s6, 8, v0
	v_lshrrev_b32_e32 v6, 2, v1
	s_waitcnt lgkmcnt(0)
	v_cmp_gt_i32_e32 vcc, s16, v6
	s_and_saveexec_b64 s[0:1], vcc
	s_cbranch_execz .LBB9_31
; %bb.1:
	s_load_dwordx2 s[0:1], s[4:5], 0x18
	v_lshlrev_b32_e32 v1, 2, v6
	s_mov_b64 s[8:9], -1
	v_mov_b32_e32 v10, 3
	s_waitcnt lgkmcnt(0)
	global_load_dwordx2 v[1:2], v1, s[0:1]
	s_load_dword s0, s[0:1], 0x0
	s_waitcnt vmcnt(0) lgkmcnt(0)
	v_subrev_u32_e32 v8, s0, v2
	v_cmp_lt_i32_e32 vcc, v2, v1
	v_cmp_gt_i32_e64 s[2:3], 0, v8
	v_subrev_u32_e32 v7, s0, v1
	s_or_b64 s[2:3], s[2:3], vcc
	v_cmp_lt_i32_e64 s[0:1], -1, v7
	s_xor_b64 s[2:3], s[2:3], -1
	s_and_b64 s[0:1], s[0:1], s[2:3]
	s_and_saveexec_b64 s[6:7], s[0:1]
	s_cbranch_execz .LBB9_29
; %bb.2:
	v_and_b32_e32 v0, 3, v0
	v_add_u32_e32 v0, v7, v0
	v_mov_b32_e32 v10, 3
	v_cmp_lt_u32_e32 vcc, v0, v8
	s_mov_b64 s[0:1], 0
	s_and_saveexec_b64 s[18:19], vcc
	s_cbranch_execz .LBB9_28
; %bb.3:
	s_load_dwordx8 s[8:15], s[4:5], 0x20
	s_load_dwordx2 s[20:21], s[4:5], 0x10
	s_mov_b32 s28, 0
	s_mov_b64 s[22:23], 0
	s_mov_b32 s29, 0x7ff00000
	s_waitcnt lgkmcnt(0)
	s_cmp_lg_u32 s13, 0
	s_cselect_b64 s[24:25], -1, 0
	s_cmp_lg_u32 s14, 0
	s_cselect_b64 s[26:27], -1, 0
	;; [unrolled: 2-line block ×3, first 2 shown]
	v_mov_b32_e32 v9, s9
                                        ; implicit-def: $sgpr30_sgpr31
                                        ; implicit-def: $sgpr34_sgpr35
                                        ; implicit-def: $sgpr36_sgpr37
	s_branch .LBB9_10
.LBB9_4:                                ;   in Loop: Header=BB9_10 Depth=1
	s_or_b64 exec, exec, s[50:51]
	s_orn2_b64 s[50:51], s[2:3], exec
	s_orn2_b64 s[0:1], s[44:45], exec
.LBB9_5:                                ;   in Loop: Header=BB9_10 Depth=1
	s_or_b64 exec, exec, s[48:49]
	s_orn2_b64 s[2:3], s[50:51], exec
	s_orn2_b64 s[0:1], s[0:1], exec
.LBB9_6:                                ;   in Loop: Header=BB9_10 Depth=1
	s_or_b64 exec, exec, s[46:47]
	s_orn2_b64 s[2:3], s[2:3], exec
	s_orn2_b64 s[0:1], s[0:1], exec
.LBB9_7:                                ;   in Loop: Header=BB9_10 Depth=1
	s_or_b64 exec, exec, s[42:43]
	s_orn2_b64 s[2:3], s[2:3], exec
	s_orn2_b64 s[0:1], s[0:1], exec
.LBB9_8:                                ;   in Loop: Header=BB9_10 Depth=1
	s_or_b64 exec, exec, s[40:41]
	s_andn2_b64 s[36:37], s[36:37], exec
	s_and_b64 s[2:3], s[2:3], exec
	s_or_b64 s[36:37], s[36:37], s[2:3]
	s_andn2_b64 s[2:3], s[34:35], exec
	s_and_b64 s[0:1], s[0:1], exec
	s_or_b64 s[34:35], s[2:3], s[0:1]
.LBB9_9:                                ;   in Loop: Header=BB9_10 Depth=1
	s_or_b64 exec, exec, s[38:39]
	s_and_b64 s[0:1], exec, s[34:35]
	s_or_b64 s[22:23], s[0:1], s[22:23]
	s_andn2_b64 s[0:1], s[30:31], exec
	s_and_b64 s[2:3], s[36:37], exec
	s_or_b64 s[30:31], s[0:1], s[2:3]
	s_andn2_b64 exec, exec, s[22:23]
	s_cbranch_execz .LBB9_27
.LBB9_10:                               ; =>This Inner Loop Header: Depth=1
	v_ashrrev_i32_e32 v1, 31, v0
	v_lshlrev_b64 v[4:5], 2, v[0:1]
	v_mov_b32_e32 v10, 4
	v_add_co_u32_e32 v2, vcc, s8, v4
	v_addc_co_u32_e32 v3, vcc, v9, v5, vcc
	global_load_dword v11, v[2:3], off
	s_or_b64 s[36:37], s[36:37], exec
	s_or_b64 s[34:35], s[34:35], exec
	s_waitcnt vmcnt(0)
	v_subrev_u32_e32 v12, s12, v11
	v_cmp_lt_i32_e32 vcc, -1, v12
	v_cmp_gt_i32_e64 s[0:1], s17, v12
	s_and_b64 s[0:1], vcc, s[0:1]
	s_and_saveexec_b64 s[38:39], s[0:1]
	s_cbranch_execz .LBB9_9
; %bb.11:                               ;   in Loop: Header=BB9_10 Depth=1
	v_cmp_le_i32_e64 s[44:45], v0, v7
	v_cmp_gt_i32_e32 vcc, v0, v7
	v_mov_b32_e32 v10, 4
	s_mov_b64 s[42:43], s[44:45]
	s_and_saveexec_b64 s[40:41], vcc
	s_cbranch_execz .LBB9_13
; %bb.12:                               ;   in Loop: Header=BB9_10 Depth=1
	v_mov_b32_e32 v10, s11
	v_add_co_u32_e32 v4, vcc, s10, v4
	v_addc_co_u32_e32 v5, vcc, v10, v5, vcc
	global_load_dwordx2 v[4:5], v[4:5], off offset:-4
	v_mov_b32_e32 v10, 5
	s_waitcnt vmcnt(0)
	v_subrev_u32_e32 v13, s12, v4
	v_cmp_lt_i32_e64 s[0:1], -1, v13
	v_cmp_gt_i32_e64 s[2:3], s17, v13
	s_and_b64 s[0:1], s[0:1], s[2:3]
	v_cmp_ne_u32_e32 vcc, v5, v4
	s_xor_b64 s[0:1], s[0:1], -1
	s_or_b64 s[0:1], vcc, s[0:1]
	s_andn2_b64 s[2:3], s[44:45], exec
	s_and_b64 s[0:1], s[0:1], exec
	s_or_b64 s[42:43], s[2:3], s[0:1]
.LBB9_13:                               ;   in Loop: Header=BB9_10 Depth=1
	s_or_b64 exec, exec, s[40:41]
	s_mov_b64 s[0:1], -1
	s_mov_b64 s[2:3], -1
	s_and_saveexec_b64 s[40:41], s[42:43]
	s_cbranch_execz .LBB9_8
; %bb.14:                               ;   in Loop: Header=BB9_10 Depth=1
	v_lshlrev_b64 v[4:5], 3, v[0:1]
	v_mov_b32_e32 v1, s21
	v_add_co_u32_e32 v4, vcc, s20, v4
	v_addc_co_u32_e32 v5, vcc, v1, v5, vcc
	global_load_dwordx2 v[4:5], v[4:5], off
	v_mov_b32_e32 v10, 1
	s_waitcnt vmcnt(0)
	v_cmp_neq_f64_e32 vcc, s[28:29], v[4:5]
	s_and_saveexec_b64 s[42:43], vcc
	s_cbranch_execz .LBB9_7
; %bb.15:                               ;   in Loop: Header=BB9_10 Depth=1
	v_cmp_o_f64_e32 vcc, v[4:5], v[4:5]
	v_mov_b32_e32 v10, 2
	s_and_saveexec_b64 s[46:47], vcc
	s_cbranch_execz .LBB9_6
; %bb.16:                               ;   in Loop: Header=BB9_10 Depth=1
	s_and_b64 vcc, exec, s[24:25]
	s_cbranch_vccz .LBB9_19
; %bb.17:                               ;   in Loop: Header=BB9_10 Depth=1
	s_and_b64 vcc, exec, s[26:27]
	s_cbranch_vccz .LBB9_20
; %bb.18:                               ;   in Loop: Header=BB9_10 Depth=1
	v_cmp_le_i32_e32 vcc, v6, v12
	s_mov_b32 s9, 7
	s_and_b64 s[2:3], vcc, exec
	s_cbranch_execz .LBB9_21
	s_branch .LBB9_22
.LBB9_19:                               ;   in Loop: Header=BB9_10 Depth=1
	s_mov_b32 s9, 2
	s_branch .LBB9_22
.LBB9_20:                               ;   in Loop: Header=BB9_10 Depth=1
	s_mov_b64 s[2:3], 0
	s_mov_b32 s9, 2
.LBB9_21:                               ;   in Loop: Header=BB9_10 Depth=1
	v_cmp_ge_i32_e32 vcc, v6, v12
	s_andn2_b64 s[2:3], s[2:3], exec
	s_and_b64 s[48:49], vcc, exec
	s_mov_b32 s9, 7
	s_or_b64 s[2:3], s[2:3], s[48:49]
.LBB9_22:                               ;   in Loop: Header=BB9_10 Depth=1
	v_mov_b32_e32 v10, s9
	s_mov_b64 s[50:51], -1
	s_and_saveexec_b64 s[48:49], s[2:3]
	s_cbranch_execz .LBB9_5
; %bb.23:                               ;   in Loop: Header=BB9_10 Depth=1
	s_nor_b64 s[2:3], s[14:15], s[44:45]
	s_mov_b64 s[44:45], -1
	v_mov_b32_e32 v10, s9
	s_and_saveexec_b64 s[50:51], s[2:3]
	s_cbranch_execz .LBB9_25
; %bb.24:                               ;   in Loop: Header=BB9_10 Depth=1
	global_load_dword v1, v[2:3], off offset:-4
	v_mov_b32_e32 v10, 6
	s_waitcnt vmcnt(0)
	v_subrev_u32_e32 v2, s12, v1
	v_cmp_lt_i32_e64 s[0:1], -1, v2
	v_cmp_gt_i32_e64 s[2:3], s17, v2
	s_and_b64 s[0:1], s[0:1], s[2:3]
	v_cmp_gt_i32_e32 vcc, v11, v1
	s_xor_b64 s[0:1], s[0:1], -1
	s_or_b64 s[0:1], vcc, s[0:1]
	s_orn2_b64 s[0:1], s[0:1], exec
.LBB9_25:                               ;   in Loop: Header=BB9_10 Depth=1
	s_or_b64 exec, exec, s[50:51]
	s_mov_b64 s[2:3], -1
	s_and_saveexec_b64 s[50:51], s[0:1]
	s_cbranch_execz .LBB9_4
; %bb.26:                               ;   in Loop: Header=BB9_10 Depth=1
	v_add_u32_e32 v0, 4, v0
	v_cmp_ge_i32_e32 vcc, v0, v8
	s_xor_b64 s[2:3], exec, -1
	s_orn2_b64 s[44:45], vcc, exec
	s_branch .LBB9_4
.LBB9_27:
	s_or_b64 exec, exec, s[22:23]
	s_and_b64 s[0:1], s[30:31], exec
.LBB9_28:
	s_or_b64 exec, exec, s[18:19]
	s_orn2_b64 s[8:9], s[0:1], exec
.LBB9_29:
	s_or_b64 exec, exec, s[6:7]
	s_and_b64 exec, exec, s[8:9]
	s_cbranch_execz .LBB9_31
; %bb.30:
	s_load_dwordx2 s[0:1], s[4:5], 0x40
	v_mov_b32_e32 v0, 0
	s_waitcnt lgkmcnt(0)
	global_store_dword v0, v10, s[0:1]
.LBB9_31:
	s_endpgm
	.section	.rodata,"a",@progbits
	.p2align	6, 0x0
	.amdhsa_kernel _ZN9rocsparseL23check_matrix_csr_deviceILj256ELj4EdiiEEvT3_S1_T2_PKT1_PKS2_PKS1_S9_21rocsparse_index_base_22rocsparse_matrix_type_20rocsparse_fill_mode_23rocsparse_storage_mode_P22rocsparse_data_status_
		.amdhsa_group_segment_fixed_size 0
		.amdhsa_private_segment_fixed_size 0
		.amdhsa_kernarg_size 72
		.amdhsa_user_sgpr_count 6
		.amdhsa_user_sgpr_private_segment_buffer 1
		.amdhsa_user_sgpr_dispatch_ptr 0
		.amdhsa_user_sgpr_queue_ptr 0
		.amdhsa_user_sgpr_kernarg_segment_ptr 1
		.amdhsa_user_sgpr_dispatch_id 0
		.amdhsa_user_sgpr_flat_scratch_init 0
		.amdhsa_user_sgpr_private_segment_size 0
		.amdhsa_uses_dynamic_stack 0
		.amdhsa_system_sgpr_private_segment_wavefront_offset 0
		.amdhsa_system_sgpr_workgroup_id_x 1
		.amdhsa_system_sgpr_workgroup_id_y 0
		.amdhsa_system_sgpr_workgroup_id_z 0
		.amdhsa_system_sgpr_workgroup_info 0
		.amdhsa_system_vgpr_workitem_id 0
		.amdhsa_next_free_vgpr 14
		.amdhsa_next_free_sgpr 52
		.amdhsa_reserve_vcc 1
		.amdhsa_reserve_flat_scratch 0
		.amdhsa_float_round_mode_32 0
		.amdhsa_float_round_mode_16_64 0
		.amdhsa_float_denorm_mode_32 3
		.amdhsa_float_denorm_mode_16_64 3
		.amdhsa_dx10_clamp 1
		.amdhsa_ieee_mode 1
		.amdhsa_fp16_overflow 0
		.amdhsa_exception_fp_ieee_invalid_op 0
		.amdhsa_exception_fp_denorm_src 0
		.amdhsa_exception_fp_ieee_div_zero 0
		.amdhsa_exception_fp_ieee_overflow 0
		.amdhsa_exception_fp_ieee_underflow 0
		.amdhsa_exception_fp_ieee_inexact 0
		.amdhsa_exception_int_div_zero 0
	.end_amdhsa_kernel
	.section	.text._ZN9rocsparseL23check_matrix_csr_deviceILj256ELj4EdiiEEvT3_S1_T2_PKT1_PKS2_PKS1_S9_21rocsparse_index_base_22rocsparse_matrix_type_20rocsparse_fill_mode_23rocsparse_storage_mode_P22rocsparse_data_status_,"axG",@progbits,_ZN9rocsparseL23check_matrix_csr_deviceILj256ELj4EdiiEEvT3_S1_T2_PKT1_PKS2_PKS1_S9_21rocsparse_index_base_22rocsparse_matrix_type_20rocsparse_fill_mode_23rocsparse_storage_mode_P22rocsparse_data_status_,comdat
.Lfunc_end9:
	.size	_ZN9rocsparseL23check_matrix_csr_deviceILj256ELj4EdiiEEvT3_S1_T2_PKT1_PKS2_PKS1_S9_21rocsparse_index_base_22rocsparse_matrix_type_20rocsparse_fill_mode_23rocsparse_storage_mode_P22rocsparse_data_status_, .Lfunc_end9-_ZN9rocsparseL23check_matrix_csr_deviceILj256ELj4EdiiEEvT3_S1_T2_PKT1_PKS2_PKS1_S9_21rocsparse_index_base_22rocsparse_matrix_type_20rocsparse_fill_mode_23rocsparse_storage_mode_P22rocsparse_data_status_
                                        ; -- End function
	.set _ZN9rocsparseL23check_matrix_csr_deviceILj256ELj4EdiiEEvT3_S1_T2_PKT1_PKS2_PKS1_S9_21rocsparse_index_base_22rocsparse_matrix_type_20rocsparse_fill_mode_23rocsparse_storage_mode_P22rocsparse_data_status_.num_vgpr, 14
	.set _ZN9rocsparseL23check_matrix_csr_deviceILj256ELj4EdiiEEvT3_S1_T2_PKT1_PKS2_PKS1_S9_21rocsparse_index_base_22rocsparse_matrix_type_20rocsparse_fill_mode_23rocsparse_storage_mode_P22rocsparse_data_status_.num_agpr, 0
	.set _ZN9rocsparseL23check_matrix_csr_deviceILj256ELj4EdiiEEvT3_S1_T2_PKT1_PKS2_PKS1_S9_21rocsparse_index_base_22rocsparse_matrix_type_20rocsparse_fill_mode_23rocsparse_storage_mode_P22rocsparse_data_status_.numbered_sgpr, 52
	.set _ZN9rocsparseL23check_matrix_csr_deviceILj256ELj4EdiiEEvT3_S1_T2_PKT1_PKS2_PKS1_S9_21rocsparse_index_base_22rocsparse_matrix_type_20rocsparse_fill_mode_23rocsparse_storage_mode_P22rocsparse_data_status_.num_named_barrier, 0
	.set _ZN9rocsparseL23check_matrix_csr_deviceILj256ELj4EdiiEEvT3_S1_T2_PKT1_PKS2_PKS1_S9_21rocsparse_index_base_22rocsparse_matrix_type_20rocsparse_fill_mode_23rocsparse_storage_mode_P22rocsparse_data_status_.private_seg_size, 0
	.set _ZN9rocsparseL23check_matrix_csr_deviceILj256ELj4EdiiEEvT3_S1_T2_PKT1_PKS2_PKS1_S9_21rocsparse_index_base_22rocsparse_matrix_type_20rocsparse_fill_mode_23rocsparse_storage_mode_P22rocsparse_data_status_.uses_vcc, 1
	.set _ZN9rocsparseL23check_matrix_csr_deviceILj256ELj4EdiiEEvT3_S1_T2_PKT1_PKS2_PKS1_S9_21rocsparse_index_base_22rocsparse_matrix_type_20rocsparse_fill_mode_23rocsparse_storage_mode_P22rocsparse_data_status_.uses_flat_scratch, 0
	.set _ZN9rocsparseL23check_matrix_csr_deviceILj256ELj4EdiiEEvT3_S1_T2_PKT1_PKS2_PKS1_S9_21rocsparse_index_base_22rocsparse_matrix_type_20rocsparse_fill_mode_23rocsparse_storage_mode_P22rocsparse_data_status_.has_dyn_sized_stack, 0
	.set _ZN9rocsparseL23check_matrix_csr_deviceILj256ELj4EdiiEEvT3_S1_T2_PKT1_PKS2_PKS1_S9_21rocsparse_index_base_22rocsparse_matrix_type_20rocsparse_fill_mode_23rocsparse_storage_mode_P22rocsparse_data_status_.has_recursion, 0
	.set _ZN9rocsparseL23check_matrix_csr_deviceILj256ELj4EdiiEEvT3_S1_T2_PKT1_PKS2_PKS1_S9_21rocsparse_index_base_22rocsparse_matrix_type_20rocsparse_fill_mode_23rocsparse_storage_mode_P22rocsparse_data_status_.has_indirect_call, 0
	.section	.AMDGPU.csdata,"",@progbits
; Kernel info:
; codeLenInByte = 848
; TotalNumSgprs: 56
; NumVgprs: 14
; ScratchSize: 0
; MemoryBound: 0
; FloatMode: 240
; IeeeMode: 1
; LDSByteSize: 0 bytes/workgroup (compile time only)
; SGPRBlocks: 6
; VGPRBlocks: 3
; NumSGPRsForWavesPerEU: 56
; NumVGPRsForWavesPerEU: 14
; Occupancy: 10
; WaveLimiterHint : 0
; COMPUTE_PGM_RSRC2:SCRATCH_EN: 0
; COMPUTE_PGM_RSRC2:USER_SGPR: 6
; COMPUTE_PGM_RSRC2:TRAP_HANDLER: 0
; COMPUTE_PGM_RSRC2:TGID_X_EN: 1
; COMPUTE_PGM_RSRC2:TGID_Y_EN: 0
; COMPUTE_PGM_RSRC2:TGID_Z_EN: 0
; COMPUTE_PGM_RSRC2:TIDIG_COMP_CNT: 0
	.section	.text._ZN9rocsparseL23check_matrix_csr_deviceILj256ELj8EdiiEEvT3_S1_T2_PKT1_PKS2_PKS1_S9_21rocsparse_index_base_22rocsparse_matrix_type_20rocsparse_fill_mode_23rocsparse_storage_mode_P22rocsparse_data_status_,"axG",@progbits,_ZN9rocsparseL23check_matrix_csr_deviceILj256ELj8EdiiEEvT3_S1_T2_PKT1_PKS2_PKS1_S9_21rocsparse_index_base_22rocsparse_matrix_type_20rocsparse_fill_mode_23rocsparse_storage_mode_P22rocsparse_data_status_,comdat
	.globl	_ZN9rocsparseL23check_matrix_csr_deviceILj256ELj8EdiiEEvT3_S1_T2_PKT1_PKS2_PKS1_S9_21rocsparse_index_base_22rocsparse_matrix_type_20rocsparse_fill_mode_23rocsparse_storage_mode_P22rocsparse_data_status_ ; -- Begin function _ZN9rocsparseL23check_matrix_csr_deviceILj256ELj8EdiiEEvT3_S1_T2_PKT1_PKS2_PKS1_S9_21rocsparse_index_base_22rocsparse_matrix_type_20rocsparse_fill_mode_23rocsparse_storage_mode_P22rocsparse_data_status_
	.p2align	8
	.type	_ZN9rocsparseL23check_matrix_csr_deviceILj256ELj8EdiiEEvT3_S1_T2_PKT1_PKS2_PKS1_S9_21rocsparse_index_base_22rocsparse_matrix_type_20rocsparse_fill_mode_23rocsparse_storage_mode_P22rocsparse_data_status_,@function
_ZN9rocsparseL23check_matrix_csr_deviceILj256ELj8EdiiEEvT3_S1_T2_PKT1_PKS2_PKS1_S9_21rocsparse_index_base_22rocsparse_matrix_type_20rocsparse_fill_mode_23rocsparse_storage_mode_P22rocsparse_data_status_: ; @_ZN9rocsparseL23check_matrix_csr_deviceILj256ELj8EdiiEEvT3_S1_T2_PKT1_PKS2_PKS1_S9_21rocsparse_index_base_22rocsparse_matrix_type_20rocsparse_fill_mode_23rocsparse_storage_mode_P22rocsparse_data_status_
; %bb.0:
	s_load_dwordx2 s[16:17], s[4:5], 0x0
	v_lshl_or_b32 v1, s6, 8, v0
	v_lshrrev_b32_e32 v6, 3, v1
	s_waitcnt lgkmcnt(0)
	v_cmp_gt_i32_e32 vcc, s16, v6
	s_and_saveexec_b64 s[0:1], vcc
	s_cbranch_execz .LBB10_31
; %bb.1:
	s_load_dwordx2 s[0:1], s[4:5], 0x18
	v_lshlrev_b32_e32 v1, 2, v6
	s_mov_b64 s[8:9], -1
	v_mov_b32_e32 v10, 3
	s_waitcnt lgkmcnt(0)
	global_load_dwordx2 v[1:2], v1, s[0:1]
	s_load_dword s0, s[0:1], 0x0
	s_waitcnt vmcnt(0) lgkmcnt(0)
	v_subrev_u32_e32 v8, s0, v2
	v_cmp_lt_i32_e32 vcc, v2, v1
	v_cmp_gt_i32_e64 s[2:3], 0, v8
	v_subrev_u32_e32 v7, s0, v1
	s_or_b64 s[2:3], s[2:3], vcc
	v_cmp_lt_i32_e64 s[0:1], -1, v7
	s_xor_b64 s[2:3], s[2:3], -1
	s_and_b64 s[0:1], s[0:1], s[2:3]
	s_and_saveexec_b64 s[6:7], s[0:1]
	s_cbranch_execz .LBB10_29
; %bb.2:
	v_and_b32_e32 v0, 7, v0
	v_add_u32_e32 v0, v7, v0
	v_cmp_lt_u32_e32 vcc, v0, v8
	s_mov_b64 s[0:1], 0
	v_mov_b32_e32 v10, 3
	s_and_saveexec_b64 s[18:19], vcc
	s_cbranch_execz .LBB10_28
; %bb.3:
	s_load_dwordx8 s[8:15], s[4:5], 0x20
	s_load_dwordx2 s[20:21], s[4:5], 0x10
	s_mov_b32 s28, 0
	s_mov_b64 s[22:23], 0
	s_mov_b32 s29, 0x7ff00000
	s_waitcnt lgkmcnt(0)
	s_cmp_lg_u32 s13, 0
	s_cselect_b64 s[24:25], -1, 0
	s_cmp_lg_u32 s14, 0
	s_cselect_b64 s[26:27], -1, 0
	;; [unrolled: 2-line block ×3, first 2 shown]
	v_mov_b32_e32 v9, s9
                                        ; implicit-def: $sgpr30_sgpr31
                                        ; implicit-def: $sgpr34_sgpr35
                                        ; implicit-def: $sgpr36_sgpr37
	s_branch .LBB10_10
.LBB10_4:                               ;   in Loop: Header=BB10_10 Depth=1
	s_or_b64 exec, exec, s[50:51]
	s_orn2_b64 s[50:51], s[2:3], exec
	s_orn2_b64 s[0:1], s[44:45], exec
.LBB10_5:                               ;   in Loop: Header=BB10_10 Depth=1
	s_or_b64 exec, exec, s[48:49]
	s_orn2_b64 s[2:3], s[50:51], exec
	s_orn2_b64 s[0:1], s[0:1], exec
.LBB10_6:                               ;   in Loop: Header=BB10_10 Depth=1
	s_or_b64 exec, exec, s[46:47]
	s_orn2_b64 s[2:3], s[2:3], exec
	s_orn2_b64 s[0:1], s[0:1], exec
.LBB10_7:                               ;   in Loop: Header=BB10_10 Depth=1
	s_or_b64 exec, exec, s[42:43]
	s_orn2_b64 s[2:3], s[2:3], exec
	s_orn2_b64 s[0:1], s[0:1], exec
.LBB10_8:                               ;   in Loop: Header=BB10_10 Depth=1
	s_or_b64 exec, exec, s[40:41]
	s_andn2_b64 s[36:37], s[36:37], exec
	s_and_b64 s[2:3], s[2:3], exec
	s_or_b64 s[36:37], s[36:37], s[2:3]
	s_andn2_b64 s[2:3], s[34:35], exec
	s_and_b64 s[0:1], s[0:1], exec
	s_or_b64 s[34:35], s[2:3], s[0:1]
.LBB10_9:                               ;   in Loop: Header=BB10_10 Depth=1
	s_or_b64 exec, exec, s[38:39]
	s_and_b64 s[0:1], exec, s[34:35]
	s_or_b64 s[22:23], s[0:1], s[22:23]
	s_andn2_b64 s[0:1], s[30:31], exec
	s_and_b64 s[2:3], s[36:37], exec
	s_or_b64 s[30:31], s[0:1], s[2:3]
	s_andn2_b64 exec, exec, s[22:23]
	s_cbranch_execz .LBB10_27
.LBB10_10:                              ; =>This Inner Loop Header: Depth=1
	v_ashrrev_i32_e32 v1, 31, v0
	v_lshlrev_b64 v[4:5], 2, v[0:1]
	v_mov_b32_e32 v10, 4
	v_add_co_u32_e32 v2, vcc, s8, v4
	v_addc_co_u32_e32 v3, vcc, v9, v5, vcc
	global_load_dword v11, v[2:3], off
	s_or_b64 s[36:37], s[36:37], exec
	s_or_b64 s[34:35], s[34:35], exec
	s_waitcnt vmcnt(0)
	v_subrev_u32_e32 v12, s12, v11
	v_cmp_lt_i32_e32 vcc, -1, v12
	v_cmp_gt_i32_e64 s[0:1], s17, v12
	s_and_b64 s[0:1], vcc, s[0:1]
	s_and_saveexec_b64 s[38:39], s[0:1]
	s_cbranch_execz .LBB10_9
; %bb.11:                               ;   in Loop: Header=BB10_10 Depth=1
	v_cmp_le_i32_e64 s[44:45], v0, v7
	v_cmp_gt_i32_e32 vcc, v0, v7
	v_mov_b32_e32 v10, 4
	s_mov_b64 s[42:43], s[44:45]
	s_and_saveexec_b64 s[40:41], vcc
	s_cbranch_execz .LBB10_13
; %bb.12:                               ;   in Loop: Header=BB10_10 Depth=1
	v_mov_b32_e32 v10, s11
	v_add_co_u32_e32 v4, vcc, s10, v4
	v_addc_co_u32_e32 v5, vcc, v10, v5, vcc
	global_load_dwordx2 v[4:5], v[4:5], off offset:-4
	v_mov_b32_e32 v10, 5
	s_waitcnt vmcnt(0)
	v_subrev_u32_e32 v13, s12, v4
	v_cmp_lt_i32_e64 s[0:1], -1, v13
	v_cmp_gt_i32_e64 s[2:3], s17, v13
	s_and_b64 s[0:1], s[0:1], s[2:3]
	v_cmp_ne_u32_e32 vcc, v5, v4
	s_xor_b64 s[0:1], s[0:1], -1
	s_or_b64 s[0:1], vcc, s[0:1]
	s_andn2_b64 s[2:3], s[44:45], exec
	s_and_b64 s[0:1], s[0:1], exec
	s_or_b64 s[42:43], s[2:3], s[0:1]
.LBB10_13:                              ;   in Loop: Header=BB10_10 Depth=1
	s_or_b64 exec, exec, s[40:41]
	s_mov_b64 s[0:1], -1
	s_mov_b64 s[2:3], -1
	s_and_saveexec_b64 s[40:41], s[42:43]
	s_cbranch_execz .LBB10_8
; %bb.14:                               ;   in Loop: Header=BB10_10 Depth=1
	v_lshlrev_b64 v[4:5], 3, v[0:1]
	v_mov_b32_e32 v1, s21
	v_add_co_u32_e32 v4, vcc, s20, v4
	v_addc_co_u32_e32 v5, vcc, v1, v5, vcc
	global_load_dwordx2 v[4:5], v[4:5], off
	v_mov_b32_e32 v10, 1
	s_waitcnt vmcnt(0)
	v_cmp_neq_f64_e32 vcc, s[28:29], v[4:5]
	s_and_saveexec_b64 s[42:43], vcc
	s_cbranch_execz .LBB10_7
; %bb.15:                               ;   in Loop: Header=BB10_10 Depth=1
	v_cmp_o_f64_e32 vcc, v[4:5], v[4:5]
	v_mov_b32_e32 v10, 2
	s_and_saveexec_b64 s[46:47], vcc
	s_cbranch_execz .LBB10_6
; %bb.16:                               ;   in Loop: Header=BB10_10 Depth=1
	s_and_b64 vcc, exec, s[24:25]
	s_cbranch_vccz .LBB10_19
; %bb.17:                               ;   in Loop: Header=BB10_10 Depth=1
	s_and_b64 vcc, exec, s[26:27]
	s_cbranch_vccz .LBB10_20
; %bb.18:                               ;   in Loop: Header=BB10_10 Depth=1
	v_cmp_le_i32_e32 vcc, v6, v12
	s_mov_b32 s9, 7
	s_and_b64 s[2:3], vcc, exec
	s_cbranch_execz .LBB10_21
	s_branch .LBB10_22
.LBB10_19:                              ;   in Loop: Header=BB10_10 Depth=1
	s_mov_b32 s9, 2
	s_branch .LBB10_22
.LBB10_20:                              ;   in Loop: Header=BB10_10 Depth=1
	s_mov_b64 s[2:3], 0
	s_mov_b32 s9, 2
.LBB10_21:                              ;   in Loop: Header=BB10_10 Depth=1
	v_cmp_ge_i32_e32 vcc, v6, v12
	s_andn2_b64 s[2:3], s[2:3], exec
	s_and_b64 s[48:49], vcc, exec
	s_mov_b32 s9, 7
	s_or_b64 s[2:3], s[2:3], s[48:49]
.LBB10_22:                              ;   in Loop: Header=BB10_10 Depth=1
	v_mov_b32_e32 v10, s9
	s_mov_b64 s[50:51], -1
	s_and_saveexec_b64 s[48:49], s[2:3]
	s_cbranch_execz .LBB10_5
; %bb.23:                               ;   in Loop: Header=BB10_10 Depth=1
	s_nor_b64 s[2:3], s[14:15], s[44:45]
	s_mov_b64 s[44:45], -1
	v_mov_b32_e32 v10, s9
	s_and_saveexec_b64 s[50:51], s[2:3]
	s_cbranch_execz .LBB10_25
; %bb.24:                               ;   in Loop: Header=BB10_10 Depth=1
	global_load_dword v1, v[2:3], off offset:-4
	v_mov_b32_e32 v10, 6
	s_waitcnt vmcnt(0)
	v_subrev_u32_e32 v2, s12, v1
	v_cmp_lt_i32_e64 s[0:1], -1, v2
	v_cmp_gt_i32_e64 s[2:3], s17, v2
	s_and_b64 s[0:1], s[0:1], s[2:3]
	v_cmp_gt_i32_e32 vcc, v11, v1
	s_xor_b64 s[0:1], s[0:1], -1
	s_or_b64 s[0:1], vcc, s[0:1]
	s_orn2_b64 s[0:1], s[0:1], exec
.LBB10_25:                              ;   in Loop: Header=BB10_10 Depth=1
	s_or_b64 exec, exec, s[50:51]
	s_mov_b64 s[2:3], -1
	s_and_saveexec_b64 s[50:51], s[0:1]
	s_cbranch_execz .LBB10_4
; %bb.26:                               ;   in Loop: Header=BB10_10 Depth=1
	v_add_u32_e32 v0, 8, v0
	v_cmp_ge_i32_e32 vcc, v0, v8
	s_xor_b64 s[2:3], exec, -1
	s_orn2_b64 s[44:45], vcc, exec
	s_branch .LBB10_4
.LBB10_27:
	s_or_b64 exec, exec, s[22:23]
	s_and_b64 s[0:1], s[30:31], exec
.LBB10_28:
	s_or_b64 exec, exec, s[18:19]
	s_orn2_b64 s[8:9], s[0:1], exec
.LBB10_29:
	s_or_b64 exec, exec, s[6:7]
	s_and_b64 exec, exec, s[8:9]
	s_cbranch_execz .LBB10_31
; %bb.30:
	s_load_dwordx2 s[0:1], s[4:5], 0x40
	v_mov_b32_e32 v0, 0
	s_waitcnt lgkmcnt(0)
	global_store_dword v0, v10, s[0:1]
.LBB10_31:
	s_endpgm
	.section	.rodata,"a",@progbits
	.p2align	6, 0x0
	.amdhsa_kernel _ZN9rocsparseL23check_matrix_csr_deviceILj256ELj8EdiiEEvT3_S1_T2_PKT1_PKS2_PKS1_S9_21rocsparse_index_base_22rocsparse_matrix_type_20rocsparse_fill_mode_23rocsparse_storage_mode_P22rocsparse_data_status_
		.amdhsa_group_segment_fixed_size 0
		.amdhsa_private_segment_fixed_size 0
		.amdhsa_kernarg_size 72
		.amdhsa_user_sgpr_count 6
		.amdhsa_user_sgpr_private_segment_buffer 1
		.amdhsa_user_sgpr_dispatch_ptr 0
		.amdhsa_user_sgpr_queue_ptr 0
		.amdhsa_user_sgpr_kernarg_segment_ptr 1
		.amdhsa_user_sgpr_dispatch_id 0
		.amdhsa_user_sgpr_flat_scratch_init 0
		.amdhsa_user_sgpr_private_segment_size 0
		.amdhsa_uses_dynamic_stack 0
		.amdhsa_system_sgpr_private_segment_wavefront_offset 0
		.amdhsa_system_sgpr_workgroup_id_x 1
		.amdhsa_system_sgpr_workgroup_id_y 0
		.amdhsa_system_sgpr_workgroup_id_z 0
		.amdhsa_system_sgpr_workgroup_info 0
		.amdhsa_system_vgpr_workitem_id 0
		.amdhsa_next_free_vgpr 14
		.amdhsa_next_free_sgpr 52
		.amdhsa_reserve_vcc 1
		.amdhsa_reserve_flat_scratch 0
		.amdhsa_float_round_mode_32 0
		.amdhsa_float_round_mode_16_64 0
		.amdhsa_float_denorm_mode_32 3
		.amdhsa_float_denorm_mode_16_64 3
		.amdhsa_dx10_clamp 1
		.amdhsa_ieee_mode 1
		.amdhsa_fp16_overflow 0
		.amdhsa_exception_fp_ieee_invalid_op 0
		.amdhsa_exception_fp_denorm_src 0
		.amdhsa_exception_fp_ieee_div_zero 0
		.amdhsa_exception_fp_ieee_overflow 0
		.amdhsa_exception_fp_ieee_underflow 0
		.amdhsa_exception_fp_ieee_inexact 0
		.amdhsa_exception_int_div_zero 0
	.end_amdhsa_kernel
	.section	.text._ZN9rocsparseL23check_matrix_csr_deviceILj256ELj8EdiiEEvT3_S1_T2_PKT1_PKS2_PKS1_S9_21rocsparse_index_base_22rocsparse_matrix_type_20rocsparse_fill_mode_23rocsparse_storage_mode_P22rocsparse_data_status_,"axG",@progbits,_ZN9rocsparseL23check_matrix_csr_deviceILj256ELj8EdiiEEvT3_S1_T2_PKT1_PKS2_PKS1_S9_21rocsparse_index_base_22rocsparse_matrix_type_20rocsparse_fill_mode_23rocsparse_storage_mode_P22rocsparse_data_status_,comdat
.Lfunc_end10:
	.size	_ZN9rocsparseL23check_matrix_csr_deviceILj256ELj8EdiiEEvT3_S1_T2_PKT1_PKS2_PKS1_S9_21rocsparse_index_base_22rocsparse_matrix_type_20rocsparse_fill_mode_23rocsparse_storage_mode_P22rocsparse_data_status_, .Lfunc_end10-_ZN9rocsparseL23check_matrix_csr_deviceILj256ELj8EdiiEEvT3_S1_T2_PKT1_PKS2_PKS1_S9_21rocsparse_index_base_22rocsparse_matrix_type_20rocsparse_fill_mode_23rocsparse_storage_mode_P22rocsparse_data_status_
                                        ; -- End function
	.set _ZN9rocsparseL23check_matrix_csr_deviceILj256ELj8EdiiEEvT3_S1_T2_PKT1_PKS2_PKS1_S9_21rocsparse_index_base_22rocsparse_matrix_type_20rocsparse_fill_mode_23rocsparse_storage_mode_P22rocsparse_data_status_.num_vgpr, 14
	.set _ZN9rocsparseL23check_matrix_csr_deviceILj256ELj8EdiiEEvT3_S1_T2_PKT1_PKS2_PKS1_S9_21rocsparse_index_base_22rocsparse_matrix_type_20rocsparse_fill_mode_23rocsparse_storage_mode_P22rocsparse_data_status_.num_agpr, 0
	.set _ZN9rocsparseL23check_matrix_csr_deviceILj256ELj8EdiiEEvT3_S1_T2_PKT1_PKS2_PKS1_S9_21rocsparse_index_base_22rocsparse_matrix_type_20rocsparse_fill_mode_23rocsparse_storage_mode_P22rocsparse_data_status_.numbered_sgpr, 52
	.set _ZN9rocsparseL23check_matrix_csr_deviceILj256ELj8EdiiEEvT3_S1_T2_PKT1_PKS2_PKS1_S9_21rocsparse_index_base_22rocsparse_matrix_type_20rocsparse_fill_mode_23rocsparse_storage_mode_P22rocsparse_data_status_.num_named_barrier, 0
	.set _ZN9rocsparseL23check_matrix_csr_deviceILj256ELj8EdiiEEvT3_S1_T2_PKT1_PKS2_PKS1_S9_21rocsparse_index_base_22rocsparse_matrix_type_20rocsparse_fill_mode_23rocsparse_storage_mode_P22rocsparse_data_status_.private_seg_size, 0
	.set _ZN9rocsparseL23check_matrix_csr_deviceILj256ELj8EdiiEEvT3_S1_T2_PKT1_PKS2_PKS1_S9_21rocsparse_index_base_22rocsparse_matrix_type_20rocsparse_fill_mode_23rocsparse_storage_mode_P22rocsparse_data_status_.uses_vcc, 1
	.set _ZN9rocsparseL23check_matrix_csr_deviceILj256ELj8EdiiEEvT3_S1_T2_PKT1_PKS2_PKS1_S9_21rocsparse_index_base_22rocsparse_matrix_type_20rocsparse_fill_mode_23rocsparse_storage_mode_P22rocsparse_data_status_.uses_flat_scratch, 0
	.set _ZN9rocsparseL23check_matrix_csr_deviceILj256ELj8EdiiEEvT3_S1_T2_PKT1_PKS2_PKS1_S9_21rocsparse_index_base_22rocsparse_matrix_type_20rocsparse_fill_mode_23rocsparse_storage_mode_P22rocsparse_data_status_.has_dyn_sized_stack, 0
	.set _ZN9rocsparseL23check_matrix_csr_deviceILj256ELj8EdiiEEvT3_S1_T2_PKT1_PKS2_PKS1_S9_21rocsparse_index_base_22rocsparse_matrix_type_20rocsparse_fill_mode_23rocsparse_storage_mode_P22rocsparse_data_status_.has_recursion, 0
	.set _ZN9rocsparseL23check_matrix_csr_deviceILj256ELj8EdiiEEvT3_S1_T2_PKT1_PKS2_PKS1_S9_21rocsparse_index_base_22rocsparse_matrix_type_20rocsparse_fill_mode_23rocsparse_storage_mode_P22rocsparse_data_status_.has_indirect_call, 0
	.section	.AMDGPU.csdata,"",@progbits
; Kernel info:
; codeLenInByte = 848
; TotalNumSgprs: 56
; NumVgprs: 14
; ScratchSize: 0
; MemoryBound: 0
; FloatMode: 240
; IeeeMode: 1
; LDSByteSize: 0 bytes/workgroup (compile time only)
; SGPRBlocks: 6
; VGPRBlocks: 3
; NumSGPRsForWavesPerEU: 56
; NumVGPRsForWavesPerEU: 14
; Occupancy: 10
; WaveLimiterHint : 0
; COMPUTE_PGM_RSRC2:SCRATCH_EN: 0
; COMPUTE_PGM_RSRC2:USER_SGPR: 6
; COMPUTE_PGM_RSRC2:TRAP_HANDLER: 0
; COMPUTE_PGM_RSRC2:TGID_X_EN: 1
; COMPUTE_PGM_RSRC2:TGID_Y_EN: 0
; COMPUTE_PGM_RSRC2:TGID_Z_EN: 0
; COMPUTE_PGM_RSRC2:TIDIG_COMP_CNT: 0
	.section	.text._ZN9rocsparseL23check_matrix_csr_deviceILj256ELj16EdiiEEvT3_S1_T2_PKT1_PKS2_PKS1_S9_21rocsparse_index_base_22rocsparse_matrix_type_20rocsparse_fill_mode_23rocsparse_storage_mode_P22rocsparse_data_status_,"axG",@progbits,_ZN9rocsparseL23check_matrix_csr_deviceILj256ELj16EdiiEEvT3_S1_T2_PKT1_PKS2_PKS1_S9_21rocsparse_index_base_22rocsparse_matrix_type_20rocsparse_fill_mode_23rocsparse_storage_mode_P22rocsparse_data_status_,comdat
	.globl	_ZN9rocsparseL23check_matrix_csr_deviceILj256ELj16EdiiEEvT3_S1_T2_PKT1_PKS2_PKS1_S9_21rocsparse_index_base_22rocsparse_matrix_type_20rocsparse_fill_mode_23rocsparse_storage_mode_P22rocsparse_data_status_ ; -- Begin function _ZN9rocsparseL23check_matrix_csr_deviceILj256ELj16EdiiEEvT3_S1_T2_PKT1_PKS2_PKS1_S9_21rocsparse_index_base_22rocsparse_matrix_type_20rocsparse_fill_mode_23rocsparse_storage_mode_P22rocsparse_data_status_
	.p2align	8
	.type	_ZN9rocsparseL23check_matrix_csr_deviceILj256ELj16EdiiEEvT3_S1_T2_PKT1_PKS2_PKS1_S9_21rocsparse_index_base_22rocsparse_matrix_type_20rocsparse_fill_mode_23rocsparse_storage_mode_P22rocsparse_data_status_,@function
_ZN9rocsparseL23check_matrix_csr_deviceILj256ELj16EdiiEEvT3_S1_T2_PKT1_PKS2_PKS1_S9_21rocsparse_index_base_22rocsparse_matrix_type_20rocsparse_fill_mode_23rocsparse_storage_mode_P22rocsparse_data_status_: ; @_ZN9rocsparseL23check_matrix_csr_deviceILj256ELj16EdiiEEvT3_S1_T2_PKT1_PKS2_PKS1_S9_21rocsparse_index_base_22rocsparse_matrix_type_20rocsparse_fill_mode_23rocsparse_storage_mode_P22rocsparse_data_status_
; %bb.0:
	s_load_dwordx2 s[16:17], s[4:5], 0x0
	v_lshl_or_b32 v1, s6, 8, v0
	v_lshrrev_b32_e32 v6, 4, v1
	s_waitcnt lgkmcnt(0)
	v_cmp_gt_i32_e32 vcc, s16, v6
	s_and_saveexec_b64 s[0:1], vcc
	s_cbranch_execz .LBB11_31
; %bb.1:
	s_load_dwordx2 s[0:1], s[4:5], 0x18
	v_lshlrev_b32_e32 v1, 2, v6
	s_mov_b64 s[8:9], -1
	v_mov_b32_e32 v10, 3
	s_waitcnt lgkmcnt(0)
	global_load_dwordx2 v[1:2], v1, s[0:1]
	s_load_dword s0, s[0:1], 0x0
	s_waitcnt vmcnt(0) lgkmcnt(0)
	v_subrev_u32_e32 v8, s0, v2
	v_cmp_lt_i32_e32 vcc, v2, v1
	v_cmp_gt_i32_e64 s[2:3], 0, v8
	v_subrev_u32_e32 v7, s0, v1
	s_or_b64 s[2:3], s[2:3], vcc
	v_cmp_lt_i32_e64 s[0:1], -1, v7
	s_xor_b64 s[2:3], s[2:3], -1
	s_and_b64 s[0:1], s[0:1], s[2:3]
	s_and_saveexec_b64 s[6:7], s[0:1]
	s_cbranch_execz .LBB11_29
; %bb.2:
	v_and_b32_e32 v0, 15, v0
	v_add_u32_e32 v0, v7, v0
	v_cmp_lt_u32_e32 vcc, v0, v8
	s_mov_b64 s[0:1], 0
	v_mov_b32_e32 v10, 3
	s_and_saveexec_b64 s[18:19], vcc
	s_cbranch_execz .LBB11_28
; %bb.3:
	s_load_dwordx8 s[8:15], s[4:5], 0x20
	s_load_dwordx2 s[20:21], s[4:5], 0x10
	s_mov_b32 s28, 0
	s_mov_b64 s[22:23], 0
	s_mov_b32 s29, 0x7ff00000
	s_waitcnt lgkmcnt(0)
	s_cmp_lg_u32 s13, 0
	s_cselect_b64 s[24:25], -1, 0
	s_cmp_lg_u32 s14, 0
	s_cselect_b64 s[26:27], -1, 0
	s_cmp_lg_u32 s15, 0
	s_cselect_b64 s[14:15], -1, 0
	v_mov_b32_e32 v9, s9
                                        ; implicit-def: $sgpr30_sgpr31
                                        ; implicit-def: $sgpr34_sgpr35
                                        ; implicit-def: $sgpr36_sgpr37
	s_branch .LBB11_10
.LBB11_4:                               ;   in Loop: Header=BB11_10 Depth=1
	s_or_b64 exec, exec, s[50:51]
	s_orn2_b64 s[50:51], s[2:3], exec
	s_orn2_b64 s[0:1], s[44:45], exec
.LBB11_5:                               ;   in Loop: Header=BB11_10 Depth=1
	s_or_b64 exec, exec, s[48:49]
	s_orn2_b64 s[2:3], s[50:51], exec
	s_orn2_b64 s[0:1], s[0:1], exec
.LBB11_6:                               ;   in Loop: Header=BB11_10 Depth=1
	s_or_b64 exec, exec, s[46:47]
	s_orn2_b64 s[2:3], s[2:3], exec
	s_orn2_b64 s[0:1], s[0:1], exec
.LBB11_7:                               ;   in Loop: Header=BB11_10 Depth=1
	s_or_b64 exec, exec, s[42:43]
	s_orn2_b64 s[2:3], s[2:3], exec
	s_orn2_b64 s[0:1], s[0:1], exec
.LBB11_8:                               ;   in Loop: Header=BB11_10 Depth=1
	s_or_b64 exec, exec, s[40:41]
	s_andn2_b64 s[36:37], s[36:37], exec
	s_and_b64 s[2:3], s[2:3], exec
	s_or_b64 s[36:37], s[36:37], s[2:3]
	s_andn2_b64 s[2:3], s[34:35], exec
	s_and_b64 s[0:1], s[0:1], exec
	s_or_b64 s[34:35], s[2:3], s[0:1]
.LBB11_9:                               ;   in Loop: Header=BB11_10 Depth=1
	s_or_b64 exec, exec, s[38:39]
	s_and_b64 s[0:1], exec, s[34:35]
	s_or_b64 s[22:23], s[0:1], s[22:23]
	s_andn2_b64 s[0:1], s[30:31], exec
	s_and_b64 s[2:3], s[36:37], exec
	s_or_b64 s[30:31], s[0:1], s[2:3]
	s_andn2_b64 exec, exec, s[22:23]
	s_cbranch_execz .LBB11_27
.LBB11_10:                              ; =>This Inner Loop Header: Depth=1
	v_ashrrev_i32_e32 v1, 31, v0
	v_lshlrev_b64 v[4:5], 2, v[0:1]
	v_mov_b32_e32 v10, 4
	v_add_co_u32_e32 v2, vcc, s8, v4
	v_addc_co_u32_e32 v3, vcc, v9, v5, vcc
	global_load_dword v11, v[2:3], off
	s_or_b64 s[36:37], s[36:37], exec
	s_or_b64 s[34:35], s[34:35], exec
	s_waitcnt vmcnt(0)
	v_subrev_u32_e32 v12, s12, v11
	v_cmp_lt_i32_e32 vcc, -1, v12
	v_cmp_gt_i32_e64 s[0:1], s17, v12
	s_and_b64 s[0:1], vcc, s[0:1]
	s_and_saveexec_b64 s[38:39], s[0:1]
	s_cbranch_execz .LBB11_9
; %bb.11:                               ;   in Loop: Header=BB11_10 Depth=1
	v_cmp_le_i32_e64 s[44:45], v0, v7
	v_cmp_gt_i32_e32 vcc, v0, v7
	v_mov_b32_e32 v10, 4
	s_mov_b64 s[42:43], s[44:45]
	s_and_saveexec_b64 s[40:41], vcc
	s_cbranch_execz .LBB11_13
; %bb.12:                               ;   in Loop: Header=BB11_10 Depth=1
	v_mov_b32_e32 v10, s11
	v_add_co_u32_e32 v4, vcc, s10, v4
	v_addc_co_u32_e32 v5, vcc, v10, v5, vcc
	global_load_dwordx2 v[4:5], v[4:5], off offset:-4
	v_mov_b32_e32 v10, 5
	s_waitcnt vmcnt(0)
	v_subrev_u32_e32 v13, s12, v4
	v_cmp_lt_i32_e64 s[0:1], -1, v13
	v_cmp_gt_i32_e64 s[2:3], s17, v13
	s_and_b64 s[0:1], s[0:1], s[2:3]
	v_cmp_ne_u32_e32 vcc, v5, v4
	s_xor_b64 s[0:1], s[0:1], -1
	s_or_b64 s[0:1], vcc, s[0:1]
	s_andn2_b64 s[2:3], s[44:45], exec
	s_and_b64 s[0:1], s[0:1], exec
	s_or_b64 s[42:43], s[2:3], s[0:1]
.LBB11_13:                              ;   in Loop: Header=BB11_10 Depth=1
	s_or_b64 exec, exec, s[40:41]
	s_mov_b64 s[0:1], -1
	s_mov_b64 s[2:3], -1
	s_and_saveexec_b64 s[40:41], s[42:43]
	s_cbranch_execz .LBB11_8
; %bb.14:                               ;   in Loop: Header=BB11_10 Depth=1
	v_lshlrev_b64 v[4:5], 3, v[0:1]
	v_mov_b32_e32 v1, s21
	v_add_co_u32_e32 v4, vcc, s20, v4
	v_addc_co_u32_e32 v5, vcc, v1, v5, vcc
	global_load_dwordx2 v[4:5], v[4:5], off
	v_mov_b32_e32 v10, 1
	s_waitcnt vmcnt(0)
	v_cmp_neq_f64_e32 vcc, s[28:29], v[4:5]
	s_and_saveexec_b64 s[42:43], vcc
	s_cbranch_execz .LBB11_7
; %bb.15:                               ;   in Loop: Header=BB11_10 Depth=1
	v_cmp_o_f64_e32 vcc, v[4:5], v[4:5]
	v_mov_b32_e32 v10, 2
	s_and_saveexec_b64 s[46:47], vcc
	s_cbranch_execz .LBB11_6
; %bb.16:                               ;   in Loop: Header=BB11_10 Depth=1
	s_and_b64 vcc, exec, s[24:25]
	s_cbranch_vccz .LBB11_19
; %bb.17:                               ;   in Loop: Header=BB11_10 Depth=1
	s_and_b64 vcc, exec, s[26:27]
	s_cbranch_vccz .LBB11_20
; %bb.18:                               ;   in Loop: Header=BB11_10 Depth=1
	v_cmp_le_i32_e32 vcc, v6, v12
	s_mov_b32 s9, 7
	s_and_b64 s[2:3], vcc, exec
	s_cbranch_execz .LBB11_21
	s_branch .LBB11_22
.LBB11_19:                              ;   in Loop: Header=BB11_10 Depth=1
	s_mov_b32 s9, 2
	s_branch .LBB11_22
.LBB11_20:                              ;   in Loop: Header=BB11_10 Depth=1
	s_mov_b64 s[2:3], 0
	s_mov_b32 s9, 2
.LBB11_21:                              ;   in Loop: Header=BB11_10 Depth=1
	v_cmp_ge_i32_e32 vcc, v6, v12
	s_andn2_b64 s[2:3], s[2:3], exec
	s_and_b64 s[48:49], vcc, exec
	s_mov_b32 s9, 7
	s_or_b64 s[2:3], s[2:3], s[48:49]
.LBB11_22:                              ;   in Loop: Header=BB11_10 Depth=1
	v_mov_b32_e32 v10, s9
	s_mov_b64 s[50:51], -1
	s_and_saveexec_b64 s[48:49], s[2:3]
	s_cbranch_execz .LBB11_5
; %bb.23:                               ;   in Loop: Header=BB11_10 Depth=1
	s_nor_b64 s[2:3], s[14:15], s[44:45]
	s_mov_b64 s[44:45], -1
	v_mov_b32_e32 v10, s9
	s_and_saveexec_b64 s[50:51], s[2:3]
	s_cbranch_execz .LBB11_25
; %bb.24:                               ;   in Loop: Header=BB11_10 Depth=1
	global_load_dword v1, v[2:3], off offset:-4
	v_mov_b32_e32 v10, 6
	s_waitcnt vmcnt(0)
	v_subrev_u32_e32 v2, s12, v1
	v_cmp_lt_i32_e64 s[0:1], -1, v2
	v_cmp_gt_i32_e64 s[2:3], s17, v2
	s_and_b64 s[0:1], s[0:1], s[2:3]
	v_cmp_gt_i32_e32 vcc, v11, v1
	s_xor_b64 s[0:1], s[0:1], -1
	s_or_b64 s[0:1], vcc, s[0:1]
	s_orn2_b64 s[0:1], s[0:1], exec
.LBB11_25:                              ;   in Loop: Header=BB11_10 Depth=1
	s_or_b64 exec, exec, s[50:51]
	s_mov_b64 s[2:3], -1
	s_and_saveexec_b64 s[50:51], s[0:1]
	s_cbranch_execz .LBB11_4
; %bb.26:                               ;   in Loop: Header=BB11_10 Depth=1
	v_add_u32_e32 v0, 16, v0
	v_cmp_ge_i32_e32 vcc, v0, v8
	s_xor_b64 s[2:3], exec, -1
	s_orn2_b64 s[44:45], vcc, exec
	s_branch .LBB11_4
.LBB11_27:
	s_or_b64 exec, exec, s[22:23]
	s_and_b64 s[0:1], s[30:31], exec
.LBB11_28:
	s_or_b64 exec, exec, s[18:19]
	s_orn2_b64 s[8:9], s[0:1], exec
.LBB11_29:
	s_or_b64 exec, exec, s[6:7]
	s_and_b64 exec, exec, s[8:9]
	s_cbranch_execz .LBB11_31
; %bb.30:
	s_load_dwordx2 s[0:1], s[4:5], 0x40
	v_mov_b32_e32 v0, 0
	s_waitcnt lgkmcnt(0)
	global_store_dword v0, v10, s[0:1]
.LBB11_31:
	s_endpgm
	.section	.rodata,"a",@progbits
	.p2align	6, 0x0
	.amdhsa_kernel _ZN9rocsparseL23check_matrix_csr_deviceILj256ELj16EdiiEEvT3_S1_T2_PKT1_PKS2_PKS1_S9_21rocsparse_index_base_22rocsparse_matrix_type_20rocsparse_fill_mode_23rocsparse_storage_mode_P22rocsparse_data_status_
		.amdhsa_group_segment_fixed_size 0
		.amdhsa_private_segment_fixed_size 0
		.amdhsa_kernarg_size 72
		.amdhsa_user_sgpr_count 6
		.amdhsa_user_sgpr_private_segment_buffer 1
		.amdhsa_user_sgpr_dispatch_ptr 0
		.amdhsa_user_sgpr_queue_ptr 0
		.amdhsa_user_sgpr_kernarg_segment_ptr 1
		.amdhsa_user_sgpr_dispatch_id 0
		.amdhsa_user_sgpr_flat_scratch_init 0
		.amdhsa_user_sgpr_private_segment_size 0
		.amdhsa_uses_dynamic_stack 0
		.amdhsa_system_sgpr_private_segment_wavefront_offset 0
		.amdhsa_system_sgpr_workgroup_id_x 1
		.amdhsa_system_sgpr_workgroup_id_y 0
		.amdhsa_system_sgpr_workgroup_id_z 0
		.amdhsa_system_sgpr_workgroup_info 0
		.amdhsa_system_vgpr_workitem_id 0
		.amdhsa_next_free_vgpr 14
		.amdhsa_next_free_sgpr 52
		.amdhsa_reserve_vcc 1
		.amdhsa_reserve_flat_scratch 0
		.amdhsa_float_round_mode_32 0
		.amdhsa_float_round_mode_16_64 0
		.amdhsa_float_denorm_mode_32 3
		.amdhsa_float_denorm_mode_16_64 3
		.amdhsa_dx10_clamp 1
		.amdhsa_ieee_mode 1
		.amdhsa_fp16_overflow 0
		.amdhsa_exception_fp_ieee_invalid_op 0
		.amdhsa_exception_fp_denorm_src 0
		.amdhsa_exception_fp_ieee_div_zero 0
		.amdhsa_exception_fp_ieee_overflow 0
		.amdhsa_exception_fp_ieee_underflow 0
		.amdhsa_exception_fp_ieee_inexact 0
		.amdhsa_exception_int_div_zero 0
	.end_amdhsa_kernel
	.section	.text._ZN9rocsparseL23check_matrix_csr_deviceILj256ELj16EdiiEEvT3_S1_T2_PKT1_PKS2_PKS1_S9_21rocsparse_index_base_22rocsparse_matrix_type_20rocsparse_fill_mode_23rocsparse_storage_mode_P22rocsparse_data_status_,"axG",@progbits,_ZN9rocsparseL23check_matrix_csr_deviceILj256ELj16EdiiEEvT3_S1_T2_PKT1_PKS2_PKS1_S9_21rocsparse_index_base_22rocsparse_matrix_type_20rocsparse_fill_mode_23rocsparse_storage_mode_P22rocsparse_data_status_,comdat
.Lfunc_end11:
	.size	_ZN9rocsparseL23check_matrix_csr_deviceILj256ELj16EdiiEEvT3_S1_T2_PKT1_PKS2_PKS1_S9_21rocsparse_index_base_22rocsparse_matrix_type_20rocsparse_fill_mode_23rocsparse_storage_mode_P22rocsparse_data_status_, .Lfunc_end11-_ZN9rocsparseL23check_matrix_csr_deviceILj256ELj16EdiiEEvT3_S1_T2_PKT1_PKS2_PKS1_S9_21rocsparse_index_base_22rocsparse_matrix_type_20rocsparse_fill_mode_23rocsparse_storage_mode_P22rocsparse_data_status_
                                        ; -- End function
	.set _ZN9rocsparseL23check_matrix_csr_deviceILj256ELj16EdiiEEvT3_S1_T2_PKT1_PKS2_PKS1_S9_21rocsparse_index_base_22rocsparse_matrix_type_20rocsparse_fill_mode_23rocsparse_storage_mode_P22rocsparse_data_status_.num_vgpr, 14
	.set _ZN9rocsparseL23check_matrix_csr_deviceILj256ELj16EdiiEEvT3_S1_T2_PKT1_PKS2_PKS1_S9_21rocsparse_index_base_22rocsparse_matrix_type_20rocsparse_fill_mode_23rocsparse_storage_mode_P22rocsparse_data_status_.num_agpr, 0
	.set _ZN9rocsparseL23check_matrix_csr_deviceILj256ELj16EdiiEEvT3_S1_T2_PKT1_PKS2_PKS1_S9_21rocsparse_index_base_22rocsparse_matrix_type_20rocsparse_fill_mode_23rocsparse_storage_mode_P22rocsparse_data_status_.numbered_sgpr, 52
	.set _ZN9rocsparseL23check_matrix_csr_deviceILj256ELj16EdiiEEvT3_S1_T2_PKT1_PKS2_PKS1_S9_21rocsparse_index_base_22rocsparse_matrix_type_20rocsparse_fill_mode_23rocsparse_storage_mode_P22rocsparse_data_status_.num_named_barrier, 0
	.set _ZN9rocsparseL23check_matrix_csr_deviceILj256ELj16EdiiEEvT3_S1_T2_PKT1_PKS2_PKS1_S9_21rocsparse_index_base_22rocsparse_matrix_type_20rocsparse_fill_mode_23rocsparse_storage_mode_P22rocsparse_data_status_.private_seg_size, 0
	.set _ZN9rocsparseL23check_matrix_csr_deviceILj256ELj16EdiiEEvT3_S1_T2_PKT1_PKS2_PKS1_S9_21rocsparse_index_base_22rocsparse_matrix_type_20rocsparse_fill_mode_23rocsparse_storage_mode_P22rocsparse_data_status_.uses_vcc, 1
	.set _ZN9rocsparseL23check_matrix_csr_deviceILj256ELj16EdiiEEvT3_S1_T2_PKT1_PKS2_PKS1_S9_21rocsparse_index_base_22rocsparse_matrix_type_20rocsparse_fill_mode_23rocsparse_storage_mode_P22rocsparse_data_status_.uses_flat_scratch, 0
	.set _ZN9rocsparseL23check_matrix_csr_deviceILj256ELj16EdiiEEvT3_S1_T2_PKT1_PKS2_PKS1_S9_21rocsparse_index_base_22rocsparse_matrix_type_20rocsparse_fill_mode_23rocsparse_storage_mode_P22rocsparse_data_status_.has_dyn_sized_stack, 0
	.set _ZN9rocsparseL23check_matrix_csr_deviceILj256ELj16EdiiEEvT3_S1_T2_PKT1_PKS2_PKS1_S9_21rocsparse_index_base_22rocsparse_matrix_type_20rocsparse_fill_mode_23rocsparse_storage_mode_P22rocsparse_data_status_.has_recursion, 0
	.set _ZN9rocsparseL23check_matrix_csr_deviceILj256ELj16EdiiEEvT3_S1_T2_PKT1_PKS2_PKS1_S9_21rocsparse_index_base_22rocsparse_matrix_type_20rocsparse_fill_mode_23rocsparse_storage_mode_P22rocsparse_data_status_.has_indirect_call, 0
	.section	.AMDGPU.csdata,"",@progbits
; Kernel info:
; codeLenInByte = 848
; TotalNumSgprs: 56
; NumVgprs: 14
; ScratchSize: 0
; MemoryBound: 0
; FloatMode: 240
; IeeeMode: 1
; LDSByteSize: 0 bytes/workgroup (compile time only)
; SGPRBlocks: 6
; VGPRBlocks: 3
; NumSGPRsForWavesPerEU: 56
; NumVGPRsForWavesPerEU: 14
; Occupancy: 10
; WaveLimiterHint : 0
; COMPUTE_PGM_RSRC2:SCRATCH_EN: 0
; COMPUTE_PGM_RSRC2:USER_SGPR: 6
; COMPUTE_PGM_RSRC2:TRAP_HANDLER: 0
; COMPUTE_PGM_RSRC2:TGID_X_EN: 1
; COMPUTE_PGM_RSRC2:TGID_Y_EN: 0
; COMPUTE_PGM_RSRC2:TGID_Z_EN: 0
; COMPUTE_PGM_RSRC2:TIDIG_COMP_CNT: 0
	.section	.text._ZN9rocsparseL23check_matrix_csr_deviceILj256ELj32EdiiEEvT3_S1_T2_PKT1_PKS2_PKS1_S9_21rocsparse_index_base_22rocsparse_matrix_type_20rocsparse_fill_mode_23rocsparse_storage_mode_P22rocsparse_data_status_,"axG",@progbits,_ZN9rocsparseL23check_matrix_csr_deviceILj256ELj32EdiiEEvT3_S1_T2_PKT1_PKS2_PKS1_S9_21rocsparse_index_base_22rocsparse_matrix_type_20rocsparse_fill_mode_23rocsparse_storage_mode_P22rocsparse_data_status_,comdat
	.globl	_ZN9rocsparseL23check_matrix_csr_deviceILj256ELj32EdiiEEvT3_S1_T2_PKT1_PKS2_PKS1_S9_21rocsparse_index_base_22rocsparse_matrix_type_20rocsparse_fill_mode_23rocsparse_storage_mode_P22rocsparse_data_status_ ; -- Begin function _ZN9rocsparseL23check_matrix_csr_deviceILj256ELj32EdiiEEvT3_S1_T2_PKT1_PKS2_PKS1_S9_21rocsparse_index_base_22rocsparse_matrix_type_20rocsparse_fill_mode_23rocsparse_storage_mode_P22rocsparse_data_status_
	.p2align	8
	.type	_ZN9rocsparseL23check_matrix_csr_deviceILj256ELj32EdiiEEvT3_S1_T2_PKT1_PKS2_PKS1_S9_21rocsparse_index_base_22rocsparse_matrix_type_20rocsparse_fill_mode_23rocsparse_storage_mode_P22rocsparse_data_status_,@function
_ZN9rocsparseL23check_matrix_csr_deviceILj256ELj32EdiiEEvT3_S1_T2_PKT1_PKS2_PKS1_S9_21rocsparse_index_base_22rocsparse_matrix_type_20rocsparse_fill_mode_23rocsparse_storage_mode_P22rocsparse_data_status_: ; @_ZN9rocsparseL23check_matrix_csr_deviceILj256ELj32EdiiEEvT3_S1_T2_PKT1_PKS2_PKS1_S9_21rocsparse_index_base_22rocsparse_matrix_type_20rocsparse_fill_mode_23rocsparse_storage_mode_P22rocsparse_data_status_
; %bb.0:
	s_load_dwordx2 s[16:17], s[4:5], 0x0
	v_lshl_or_b32 v1, s6, 8, v0
	v_lshrrev_b32_e32 v6, 5, v1
	s_waitcnt lgkmcnt(0)
	v_cmp_gt_i32_e32 vcc, s16, v6
	s_and_saveexec_b64 s[0:1], vcc
	s_cbranch_execz .LBB12_31
; %bb.1:
	s_load_dwordx2 s[0:1], s[4:5], 0x18
	v_lshlrev_b32_e32 v1, 2, v6
	s_mov_b64 s[8:9], -1
	v_mov_b32_e32 v10, 3
	s_waitcnt lgkmcnt(0)
	global_load_dwordx2 v[1:2], v1, s[0:1]
	s_load_dword s0, s[0:1], 0x0
	s_waitcnt vmcnt(0) lgkmcnt(0)
	v_subrev_u32_e32 v8, s0, v2
	v_cmp_lt_i32_e32 vcc, v2, v1
	v_cmp_gt_i32_e64 s[2:3], 0, v8
	v_subrev_u32_e32 v7, s0, v1
	s_or_b64 s[2:3], s[2:3], vcc
	v_cmp_lt_i32_e64 s[0:1], -1, v7
	s_xor_b64 s[2:3], s[2:3], -1
	s_and_b64 s[0:1], s[0:1], s[2:3]
	s_and_saveexec_b64 s[6:7], s[0:1]
	s_cbranch_execz .LBB12_29
; %bb.2:
	v_and_b32_e32 v0, 31, v0
	v_add_u32_e32 v0, v7, v0
	v_cmp_lt_u32_e32 vcc, v0, v8
	s_mov_b64 s[0:1], 0
	v_mov_b32_e32 v10, 3
	s_and_saveexec_b64 s[18:19], vcc
	s_cbranch_execz .LBB12_28
; %bb.3:
	s_load_dwordx8 s[8:15], s[4:5], 0x20
	s_load_dwordx2 s[20:21], s[4:5], 0x10
	s_mov_b32 s28, 0
	s_mov_b64 s[22:23], 0
	s_mov_b32 s29, 0x7ff00000
	s_waitcnt lgkmcnt(0)
	s_cmp_lg_u32 s13, 0
	s_cselect_b64 s[24:25], -1, 0
	s_cmp_lg_u32 s14, 0
	s_cselect_b64 s[26:27], -1, 0
	;; [unrolled: 2-line block ×3, first 2 shown]
	v_mov_b32_e32 v9, s9
                                        ; implicit-def: $sgpr30_sgpr31
                                        ; implicit-def: $sgpr34_sgpr35
                                        ; implicit-def: $sgpr36_sgpr37
	s_branch .LBB12_10
.LBB12_4:                               ;   in Loop: Header=BB12_10 Depth=1
	s_or_b64 exec, exec, s[50:51]
	s_orn2_b64 s[50:51], s[2:3], exec
	s_orn2_b64 s[0:1], s[44:45], exec
.LBB12_5:                               ;   in Loop: Header=BB12_10 Depth=1
	s_or_b64 exec, exec, s[48:49]
	s_orn2_b64 s[2:3], s[50:51], exec
	s_orn2_b64 s[0:1], s[0:1], exec
.LBB12_6:                               ;   in Loop: Header=BB12_10 Depth=1
	s_or_b64 exec, exec, s[46:47]
	s_orn2_b64 s[2:3], s[2:3], exec
	s_orn2_b64 s[0:1], s[0:1], exec
.LBB12_7:                               ;   in Loop: Header=BB12_10 Depth=1
	s_or_b64 exec, exec, s[42:43]
	s_orn2_b64 s[2:3], s[2:3], exec
	s_orn2_b64 s[0:1], s[0:1], exec
.LBB12_8:                               ;   in Loop: Header=BB12_10 Depth=1
	s_or_b64 exec, exec, s[40:41]
	s_andn2_b64 s[36:37], s[36:37], exec
	s_and_b64 s[2:3], s[2:3], exec
	s_or_b64 s[36:37], s[36:37], s[2:3]
	s_andn2_b64 s[2:3], s[34:35], exec
	s_and_b64 s[0:1], s[0:1], exec
	s_or_b64 s[34:35], s[2:3], s[0:1]
.LBB12_9:                               ;   in Loop: Header=BB12_10 Depth=1
	s_or_b64 exec, exec, s[38:39]
	s_and_b64 s[0:1], exec, s[34:35]
	s_or_b64 s[22:23], s[0:1], s[22:23]
	s_andn2_b64 s[0:1], s[30:31], exec
	s_and_b64 s[2:3], s[36:37], exec
	s_or_b64 s[30:31], s[0:1], s[2:3]
	s_andn2_b64 exec, exec, s[22:23]
	s_cbranch_execz .LBB12_27
.LBB12_10:                              ; =>This Inner Loop Header: Depth=1
	v_ashrrev_i32_e32 v1, 31, v0
	v_lshlrev_b64 v[4:5], 2, v[0:1]
	v_mov_b32_e32 v10, 4
	v_add_co_u32_e32 v2, vcc, s8, v4
	v_addc_co_u32_e32 v3, vcc, v9, v5, vcc
	global_load_dword v11, v[2:3], off
	s_or_b64 s[36:37], s[36:37], exec
	s_or_b64 s[34:35], s[34:35], exec
	s_waitcnt vmcnt(0)
	v_subrev_u32_e32 v12, s12, v11
	v_cmp_lt_i32_e32 vcc, -1, v12
	v_cmp_gt_i32_e64 s[0:1], s17, v12
	s_and_b64 s[0:1], vcc, s[0:1]
	s_and_saveexec_b64 s[38:39], s[0:1]
	s_cbranch_execz .LBB12_9
; %bb.11:                               ;   in Loop: Header=BB12_10 Depth=1
	v_cmp_le_i32_e64 s[44:45], v0, v7
	v_cmp_gt_i32_e32 vcc, v0, v7
	v_mov_b32_e32 v10, 4
	s_mov_b64 s[42:43], s[44:45]
	s_and_saveexec_b64 s[40:41], vcc
	s_cbranch_execz .LBB12_13
; %bb.12:                               ;   in Loop: Header=BB12_10 Depth=1
	v_mov_b32_e32 v10, s11
	v_add_co_u32_e32 v4, vcc, s10, v4
	v_addc_co_u32_e32 v5, vcc, v10, v5, vcc
	global_load_dwordx2 v[4:5], v[4:5], off offset:-4
	v_mov_b32_e32 v10, 5
	s_waitcnt vmcnt(0)
	v_subrev_u32_e32 v13, s12, v4
	v_cmp_lt_i32_e64 s[0:1], -1, v13
	v_cmp_gt_i32_e64 s[2:3], s17, v13
	s_and_b64 s[0:1], s[0:1], s[2:3]
	v_cmp_ne_u32_e32 vcc, v5, v4
	s_xor_b64 s[0:1], s[0:1], -1
	s_or_b64 s[0:1], vcc, s[0:1]
	s_andn2_b64 s[2:3], s[44:45], exec
	s_and_b64 s[0:1], s[0:1], exec
	s_or_b64 s[42:43], s[2:3], s[0:1]
.LBB12_13:                              ;   in Loop: Header=BB12_10 Depth=1
	s_or_b64 exec, exec, s[40:41]
	s_mov_b64 s[0:1], -1
	s_mov_b64 s[2:3], -1
	s_and_saveexec_b64 s[40:41], s[42:43]
	s_cbranch_execz .LBB12_8
; %bb.14:                               ;   in Loop: Header=BB12_10 Depth=1
	v_lshlrev_b64 v[4:5], 3, v[0:1]
	v_mov_b32_e32 v1, s21
	v_add_co_u32_e32 v4, vcc, s20, v4
	v_addc_co_u32_e32 v5, vcc, v1, v5, vcc
	global_load_dwordx2 v[4:5], v[4:5], off
	v_mov_b32_e32 v10, 1
	s_waitcnt vmcnt(0)
	v_cmp_neq_f64_e32 vcc, s[28:29], v[4:5]
	s_and_saveexec_b64 s[42:43], vcc
	s_cbranch_execz .LBB12_7
; %bb.15:                               ;   in Loop: Header=BB12_10 Depth=1
	v_cmp_o_f64_e32 vcc, v[4:5], v[4:5]
	v_mov_b32_e32 v10, 2
	s_and_saveexec_b64 s[46:47], vcc
	s_cbranch_execz .LBB12_6
; %bb.16:                               ;   in Loop: Header=BB12_10 Depth=1
	s_and_b64 vcc, exec, s[24:25]
	s_cbranch_vccz .LBB12_19
; %bb.17:                               ;   in Loop: Header=BB12_10 Depth=1
	s_and_b64 vcc, exec, s[26:27]
	s_cbranch_vccz .LBB12_20
; %bb.18:                               ;   in Loop: Header=BB12_10 Depth=1
	v_cmp_le_i32_e32 vcc, v6, v12
	s_mov_b32 s9, 7
	s_and_b64 s[2:3], vcc, exec
	s_cbranch_execz .LBB12_21
	s_branch .LBB12_22
.LBB12_19:                              ;   in Loop: Header=BB12_10 Depth=1
	s_mov_b32 s9, 2
	s_branch .LBB12_22
.LBB12_20:                              ;   in Loop: Header=BB12_10 Depth=1
	s_mov_b64 s[2:3], 0
	s_mov_b32 s9, 2
.LBB12_21:                              ;   in Loop: Header=BB12_10 Depth=1
	v_cmp_ge_i32_e32 vcc, v6, v12
	s_andn2_b64 s[2:3], s[2:3], exec
	s_and_b64 s[48:49], vcc, exec
	s_mov_b32 s9, 7
	s_or_b64 s[2:3], s[2:3], s[48:49]
.LBB12_22:                              ;   in Loop: Header=BB12_10 Depth=1
	v_mov_b32_e32 v10, s9
	s_mov_b64 s[50:51], -1
	s_and_saveexec_b64 s[48:49], s[2:3]
	s_cbranch_execz .LBB12_5
; %bb.23:                               ;   in Loop: Header=BB12_10 Depth=1
	s_nor_b64 s[2:3], s[14:15], s[44:45]
	s_mov_b64 s[44:45], -1
	v_mov_b32_e32 v10, s9
	s_and_saveexec_b64 s[50:51], s[2:3]
	s_cbranch_execz .LBB12_25
; %bb.24:                               ;   in Loop: Header=BB12_10 Depth=1
	global_load_dword v1, v[2:3], off offset:-4
	v_mov_b32_e32 v10, 6
	s_waitcnt vmcnt(0)
	v_subrev_u32_e32 v2, s12, v1
	v_cmp_lt_i32_e64 s[0:1], -1, v2
	v_cmp_gt_i32_e64 s[2:3], s17, v2
	s_and_b64 s[0:1], s[0:1], s[2:3]
	v_cmp_gt_i32_e32 vcc, v11, v1
	s_xor_b64 s[0:1], s[0:1], -1
	s_or_b64 s[0:1], vcc, s[0:1]
	s_orn2_b64 s[0:1], s[0:1], exec
.LBB12_25:                              ;   in Loop: Header=BB12_10 Depth=1
	s_or_b64 exec, exec, s[50:51]
	s_mov_b64 s[2:3], -1
	s_and_saveexec_b64 s[50:51], s[0:1]
	s_cbranch_execz .LBB12_4
; %bb.26:                               ;   in Loop: Header=BB12_10 Depth=1
	v_add_u32_e32 v0, 32, v0
	v_cmp_ge_i32_e32 vcc, v0, v8
	s_xor_b64 s[2:3], exec, -1
	s_orn2_b64 s[44:45], vcc, exec
	s_branch .LBB12_4
.LBB12_27:
	s_or_b64 exec, exec, s[22:23]
	s_and_b64 s[0:1], s[30:31], exec
.LBB12_28:
	s_or_b64 exec, exec, s[18:19]
	s_orn2_b64 s[8:9], s[0:1], exec
.LBB12_29:
	s_or_b64 exec, exec, s[6:7]
	s_and_b64 exec, exec, s[8:9]
	s_cbranch_execz .LBB12_31
; %bb.30:
	s_load_dwordx2 s[0:1], s[4:5], 0x40
	v_mov_b32_e32 v0, 0
	s_waitcnt lgkmcnt(0)
	global_store_dword v0, v10, s[0:1]
.LBB12_31:
	s_endpgm
	.section	.rodata,"a",@progbits
	.p2align	6, 0x0
	.amdhsa_kernel _ZN9rocsparseL23check_matrix_csr_deviceILj256ELj32EdiiEEvT3_S1_T2_PKT1_PKS2_PKS1_S9_21rocsparse_index_base_22rocsparse_matrix_type_20rocsparse_fill_mode_23rocsparse_storage_mode_P22rocsparse_data_status_
		.amdhsa_group_segment_fixed_size 0
		.amdhsa_private_segment_fixed_size 0
		.amdhsa_kernarg_size 72
		.amdhsa_user_sgpr_count 6
		.amdhsa_user_sgpr_private_segment_buffer 1
		.amdhsa_user_sgpr_dispatch_ptr 0
		.amdhsa_user_sgpr_queue_ptr 0
		.amdhsa_user_sgpr_kernarg_segment_ptr 1
		.amdhsa_user_sgpr_dispatch_id 0
		.amdhsa_user_sgpr_flat_scratch_init 0
		.amdhsa_user_sgpr_private_segment_size 0
		.amdhsa_uses_dynamic_stack 0
		.amdhsa_system_sgpr_private_segment_wavefront_offset 0
		.amdhsa_system_sgpr_workgroup_id_x 1
		.amdhsa_system_sgpr_workgroup_id_y 0
		.amdhsa_system_sgpr_workgroup_id_z 0
		.amdhsa_system_sgpr_workgroup_info 0
		.amdhsa_system_vgpr_workitem_id 0
		.amdhsa_next_free_vgpr 14
		.amdhsa_next_free_sgpr 52
		.amdhsa_reserve_vcc 1
		.amdhsa_reserve_flat_scratch 0
		.amdhsa_float_round_mode_32 0
		.amdhsa_float_round_mode_16_64 0
		.amdhsa_float_denorm_mode_32 3
		.amdhsa_float_denorm_mode_16_64 3
		.amdhsa_dx10_clamp 1
		.amdhsa_ieee_mode 1
		.amdhsa_fp16_overflow 0
		.amdhsa_exception_fp_ieee_invalid_op 0
		.amdhsa_exception_fp_denorm_src 0
		.amdhsa_exception_fp_ieee_div_zero 0
		.amdhsa_exception_fp_ieee_overflow 0
		.amdhsa_exception_fp_ieee_underflow 0
		.amdhsa_exception_fp_ieee_inexact 0
		.amdhsa_exception_int_div_zero 0
	.end_amdhsa_kernel
	.section	.text._ZN9rocsparseL23check_matrix_csr_deviceILj256ELj32EdiiEEvT3_S1_T2_PKT1_PKS2_PKS1_S9_21rocsparse_index_base_22rocsparse_matrix_type_20rocsparse_fill_mode_23rocsparse_storage_mode_P22rocsparse_data_status_,"axG",@progbits,_ZN9rocsparseL23check_matrix_csr_deviceILj256ELj32EdiiEEvT3_S1_T2_PKT1_PKS2_PKS1_S9_21rocsparse_index_base_22rocsparse_matrix_type_20rocsparse_fill_mode_23rocsparse_storage_mode_P22rocsparse_data_status_,comdat
.Lfunc_end12:
	.size	_ZN9rocsparseL23check_matrix_csr_deviceILj256ELj32EdiiEEvT3_S1_T2_PKT1_PKS2_PKS1_S9_21rocsparse_index_base_22rocsparse_matrix_type_20rocsparse_fill_mode_23rocsparse_storage_mode_P22rocsparse_data_status_, .Lfunc_end12-_ZN9rocsparseL23check_matrix_csr_deviceILj256ELj32EdiiEEvT3_S1_T2_PKT1_PKS2_PKS1_S9_21rocsparse_index_base_22rocsparse_matrix_type_20rocsparse_fill_mode_23rocsparse_storage_mode_P22rocsparse_data_status_
                                        ; -- End function
	.set _ZN9rocsparseL23check_matrix_csr_deviceILj256ELj32EdiiEEvT3_S1_T2_PKT1_PKS2_PKS1_S9_21rocsparse_index_base_22rocsparse_matrix_type_20rocsparse_fill_mode_23rocsparse_storage_mode_P22rocsparse_data_status_.num_vgpr, 14
	.set _ZN9rocsparseL23check_matrix_csr_deviceILj256ELj32EdiiEEvT3_S1_T2_PKT1_PKS2_PKS1_S9_21rocsparse_index_base_22rocsparse_matrix_type_20rocsparse_fill_mode_23rocsparse_storage_mode_P22rocsparse_data_status_.num_agpr, 0
	.set _ZN9rocsparseL23check_matrix_csr_deviceILj256ELj32EdiiEEvT3_S1_T2_PKT1_PKS2_PKS1_S9_21rocsparse_index_base_22rocsparse_matrix_type_20rocsparse_fill_mode_23rocsparse_storage_mode_P22rocsparse_data_status_.numbered_sgpr, 52
	.set _ZN9rocsparseL23check_matrix_csr_deviceILj256ELj32EdiiEEvT3_S1_T2_PKT1_PKS2_PKS1_S9_21rocsparse_index_base_22rocsparse_matrix_type_20rocsparse_fill_mode_23rocsparse_storage_mode_P22rocsparse_data_status_.num_named_barrier, 0
	.set _ZN9rocsparseL23check_matrix_csr_deviceILj256ELj32EdiiEEvT3_S1_T2_PKT1_PKS2_PKS1_S9_21rocsparse_index_base_22rocsparse_matrix_type_20rocsparse_fill_mode_23rocsparse_storage_mode_P22rocsparse_data_status_.private_seg_size, 0
	.set _ZN9rocsparseL23check_matrix_csr_deviceILj256ELj32EdiiEEvT3_S1_T2_PKT1_PKS2_PKS1_S9_21rocsparse_index_base_22rocsparse_matrix_type_20rocsparse_fill_mode_23rocsparse_storage_mode_P22rocsparse_data_status_.uses_vcc, 1
	.set _ZN9rocsparseL23check_matrix_csr_deviceILj256ELj32EdiiEEvT3_S1_T2_PKT1_PKS2_PKS1_S9_21rocsparse_index_base_22rocsparse_matrix_type_20rocsparse_fill_mode_23rocsparse_storage_mode_P22rocsparse_data_status_.uses_flat_scratch, 0
	.set _ZN9rocsparseL23check_matrix_csr_deviceILj256ELj32EdiiEEvT3_S1_T2_PKT1_PKS2_PKS1_S9_21rocsparse_index_base_22rocsparse_matrix_type_20rocsparse_fill_mode_23rocsparse_storage_mode_P22rocsparse_data_status_.has_dyn_sized_stack, 0
	.set _ZN9rocsparseL23check_matrix_csr_deviceILj256ELj32EdiiEEvT3_S1_T2_PKT1_PKS2_PKS1_S9_21rocsparse_index_base_22rocsparse_matrix_type_20rocsparse_fill_mode_23rocsparse_storage_mode_P22rocsparse_data_status_.has_recursion, 0
	.set _ZN9rocsparseL23check_matrix_csr_deviceILj256ELj32EdiiEEvT3_S1_T2_PKT1_PKS2_PKS1_S9_21rocsparse_index_base_22rocsparse_matrix_type_20rocsparse_fill_mode_23rocsparse_storage_mode_P22rocsparse_data_status_.has_indirect_call, 0
	.section	.AMDGPU.csdata,"",@progbits
; Kernel info:
; codeLenInByte = 848
; TotalNumSgprs: 56
; NumVgprs: 14
; ScratchSize: 0
; MemoryBound: 0
; FloatMode: 240
; IeeeMode: 1
; LDSByteSize: 0 bytes/workgroup (compile time only)
; SGPRBlocks: 6
; VGPRBlocks: 3
; NumSGPRsForWavesPerEU: 56
; NumVGPRsForWavesPerEU: 14
; Occupancy: 10
; WaveLimiterHint : 0
; COMPUTE_PGM_RSRC2:SCRATCH_EN: 0
; COMPUTE_PGM_RSRC2:USER_SGPR: 6
; COMPUTE_PGM_RSRC2:TRAP_HANDLER: 0
; COMPUTE_PGM_RSRC2:TGID_X_EN: 1
; COMPUTE_PGM_RSRC2:TGID_Y_EN: 0
; COMPUTE_PGM_RSRC2:TGID_Z_EN: 0
; COMPUTE_PGM_RSRC2:TIDIG_COMP_CNT: 0
	.section	.text._ZN9rocsparseL23check_matrix_csr_deviceILj256ELj64EdiiEEvT3_S1_T2_PKT1_PKS2_PKS1_S9_21rocsparse_index_base_22rocsparse_matrix_type_20rocsparse_fill_mode_23rocsparse_storage_mode_P22rocsparse_data_status_,"axG",@progbits,_ZN9rocsparseL23check_matrix_csr_deviceILj256ELj64EdiiEEvT3_S1_T2_PKT1_PKS2_PKS1_S9_21rocsparse_index_base_22rocsparse_matrix_type_20rocsparse_fill_mode_23rocsparse_storage_mode_P22rocsparse_data_status_,comdat
	.globl	_ZN9rocsparseL23check_matrix_csr_deviceILj256ELj64EdiiEEvT3_S1_T2_PKT1_PKS2_PKS1_S9_21rocsparse_index_base_22rocsparse_matrix_type_20rocsparse_fill_mode_23rocsparse_storage_mode_P22rocsparse_data_status_ ; -- Begin function _ZN9rocsparseL23check_matrix_csr_deviceILj256ELj64EdiiEEvT3_S1_T2_PKT1_PKS2_PKS1_S9_21rocsparse_index_base_22rocsparse_matrix_type_20rocsparse_fill_mode_23rocsparse_storage_mode_P22rocsparse_data_status_
	.p2align	8
	.type	_ZN9rocsparseL23check_matrix_csr_deviceILj256ELj64EdiiEEvT3_S1_T2_PKT1_PKS2_PKS1_S9_21rocsparse_index_base_22rocsparse_matrix_type_20rocsparse_fill_mode_23rocsparse_storage_mode_P22rocsparse_data_status_,@function
_ZN9rocsparseL23check_matrix_csr_deviceILj256ELj64EdiiEEvT3_S1_T2_PKT1_PKS2_PKS1_S9_21rocsparse_index_base_22rocsparse_matrix_type_20rocsparse_fill_mode_23rocsparse_storage_mode_P22rocsparse_data_status_: ; @_ZN9rocsparseL23check_matrix_csr_deviceILj256ELj64EdiiEEvT3_S1_T2_PKT1_PKS2_PKS1_S9_21rocsparse_index_base_22rocsparse_matrix_type_20rocsparse_fill_mode_23rocsparse_storage_mode_P22rocsparse_data_status_
; %bb.0:
	s_load_dwordx2 s[16:17], s[4:5], 0x0
	v_lshl_or_b32 v1, s6, 8, v0
	v_lshrrev_b32_e32 v6, 6, v1
	s_waitcnt lgkmcnt(0)
	v_cmp_gt_i32_e32 vcc, s16, v6
	s_and_saveexec_b64 s[0:1], vcc
	s_cbranch_execz .LBB13_31
; %bb.1:
	s_load_dwordx2 s[0:1], s[4:5], 0x18
	v_lshlrev_b32_e32 v1, 2, v6
	s_mov_b64 s[8:9], -1
	v_mov_b32_e32 v10, 3
	s_waitcnt lgkmcnt(0)
	global_load_dwordx2 v[1:2], v1, s[0:1]
	s_load_dword s0, s[0:1], 0x0
	s_waitcnt vmcnt(0) lgkmcnt(0)
	v_subrev_u32_e32 v8, s0, v2
	v_cmp_lt_i32_e32 vcc, v2, v1
	v_cmp_gt_i32_e64 s[2:3], 0, v8
	v_subrev_u32_e32 v7, s0, v1
	s_or_b64 s[2:3], s[2:3], vcc
	v_cmp_lt_i32_e64 s[0:1], -1, v7
	s_xor_b64 s[2:3], s[2:3], -1
	s_and_b64 s[0:1], s[0:1], s[2:3]
	s_and_saveexec_b64 s[6:7], s[0:1]
	s_cbranch_execz .LBB13_29
; %bb.2:
	v_and_b32_e32 v0, 63, v0
	v_add_u32_e32 v0, v7, v0
	v_cmp_lt_u32_e32 vcc, v0, v8
	s_mov_b64 s[0:1], 0
	v_mov_b32_e32 v10, 3
	s_and_saveexec_b64 s[18:19], vcc
	s_cbranch_execz .LBB13_28
; %bb.3:
	s_load_dwordx8 s[8:15], s[4:5], 0x20
	s_load_dwordx2 s[20:21], s[4:5], 0x10
	s_mov_b32 s28, 0
	s_mov_b64 s[22:23], 0
	s_mov_b32 s29, 0x7ff00000
	s_waitcnt lgkmcnt(0)
	s_cmp_lg_u32 s13, 0
	s_cselect_b64 s[24:25], -1, 0
	s_cmp_lg_u32 s14, 0
	s_cselect_b64 s[26:27], -1, 0
	;; [unrolled: 2-line block ×3, first 2 shown]
	v_mov_b32_e32 v9, s9
                                        ; implicit-def: $sgpr30_sgpr31
                                        ; implicit-def: $sgpr34_sgpr35
                                        ; implicit-def: $sgpr36_sgpr37
	s_branch .LBB13_10
.LBB13_4:                               ;   in Loop: Header=BB13_10 Depth=1
	s_or_b64 exec, exec, s[50:51]
	s_orn2_b64 s[50:51], s[2:3], exec
	s_orn2_b64 s[0:1], s[44:45], exec
.LBB13_5:                               ;   in Loop: Header=BB13_10 Depth=1
	s_or_b64 exec, exec, s[48:49]
	s_orn2_b64 s[2:3], s[50:51], exec
	s_orn2_b64 s[0:1], s[0:1], exec
.LBB13_6:                               ;   in Loop: Header=BB13_10 Depth=1
	s_or_b64 exec, exec, s[46:47]
	s_orn2_b64 s[2:3], s[2:3], exec
	s_orn2_b64 s[0:1], s[0:1], exec
.LBB13_7:                               ;   in Loop: Header=BB13_10 Depth=1
	s_or_b64 exec, exec, s[42:43]
	s_orn2_b64 s[2:3], s[2:3], exec
	s_orn2_b64 s[0:1], s[0:1], exec
.LBB13_8:                               ;   in Loop: Header=BB13_10 Depth=1
	s_or_b64 exec, exec, s[40:41]
	s_andn2_b64 s[36:37], s[36:37], exec
	s_and_b64 s[2:3], s[2:3], exec
	s_or_b64 s[36:37], s[36:37], s[2:3]
	s_andn2_b64 s[2:3], s[34:35], exec
	s_and_b64 s[0:1], s[0:1], exec
	s_or_b64 s[34:35], s[2:3], s[0:1]
.LBB13_9:                               ;   in Loop: Header=BB13_10 Depth=1
	s_or_b64 exec, exec, s[38:39]
	s_and_b64 s[0:1], exec, s[34:35]
	s_or_b64 s[22:23], s[0:1], s[22:23]
	s_andn2_b64 s[0:1], s[30:31], exec
	s_and_b64 s[2:3], s[36:37], exec
	s_or_b64 s[30:31], s[0:1], s[2:3]
	s_andn2_b64 exec, exec, s[22:23]
	s_cbranch_execz .LBB13_27
.LBB13_10:                              ; =>This Inner Loop Header: Depth=1
	v_ashrrev_i32_e32 v1, 31, v0
	v_lshlrev_b64 v[4:5], 2, v[0:1]
	v_mov_b32_e32 v10, 4
	v_add_co_u32_e32 v2, vcc, s8, v4
	v_addc_co_u32_e32 v3, vcc, v9, v5, vcc
	global_load_dword v11, v[2:3], off
	s_or_b64 s[36:37], s[36:37], exec
	s_or_b64 s[34:35], s[34:35], exec
	s_waitcnt vmcnt(0)
	v_subrev_u32_e32 v12, s12, v11
	v_cmp_lt_i32_e32 vcc, -1, v12
	v_cmp_gt_i32_e64 s[0:1], s17, v12
	s_and_b64 s[0:1], vcc, s[0:1]
	s_and_saveexec_b64 s[38:39], s[0:1]
	s_cbranch_execz .LBB13_9
; %bb.11:                               ;   in Loop: Header=BB13_10 Depth=1
	v_cmp_le_i32_e64 s[44:45], v0, v7
	v_cmp_gt_i32_e32 vcc, v0, v7
	v_mov_b32_e32 v10, 4
	s_mov_b64 s[42:43], s[44:45]
	s_and_saveexec_b64 s[40:41], vcc
	s_cbranch_execz .LBB13_13
; %bb.12:                               ;   in Loop: Header=BB13_10 Depth=1
	v_mov_b32_e32 v10, s11
	v_add_co_u32_e32 v4, vcc, s10, v4
	v_addc_co_u32_e32 v5, vcc, v10, v5, vcc
	global_load_dwordx2 v[4:5], v[4:5], off offset:-4
	v_mov_b32_e32 v10, 5
	s_waitcnt vmcnt(0)
	v_subrev_u32_e32 v13, s12, v4
	v_cmp_lt_i32_e64 s[0:1], -1, v13
	v_cmp_gt_i32_e64 s[2:3], s17, v13
	s_and_b64 s[0:1], s[0:1], s[2:3]
	v_cmp_ne_u32_e32 vcc, v5, v4
	s_xor_b64 s[0:1], s[0:1], -1
	s_or_b64 s[0:1], vcc, s[0:1]
	s_andn2_b64 s[2:3], s[44:45], exec
	s_and_b64 s[0:1], s[0:1], exec
	s_or_b64 s[42:43], s[2:3], s[0:1]
.LBB13_13:                              ;   in Loop: Header=BB13_10 Depth=1
	s_or_b64 exec, exec, s[40:41]
	s_mov_b64 s[0:1], -1
	s_mov_b64 s[2:3], -1
	s_and_saveexec_b64 s[40:41], s[42:43]
	s_cbranch_execz .LBB13_8
; %bb.14:                               ;   in Loop: Header=BB13_10 Depth=1
	v_lshlrev_b64 v[4:5], 3, v[0:1]
	v_mov_b32_e32 v1, s21
	v_add_co_u32_e32 v4, vcc, s20, v4
	v_addc_co_u32_e32 v5, vcc, v1, v5, vcc
	global_load_dwordx2 v[4:5], v[4:5], off
	v_mov_b32_e32 v10, 1
	s_waitcnt vmcnt(0)
	v_cmp_neq_f64_e32 vcc, s[28:29], v[4:5]
	s_and_saveexec_b64 s[42:43], vcc
	s_cbranch_execz .LBB13_7
; %bb.15:                               ;   in Loop: Header=BB13_10 Depth=1
	v_cmp_o_f64_e32 vcc, v[4:5], v[4:5]
	v_mov_b32_e32 v10, 2
	s_and_saveexec_b64 s[46:47], vcc
	s_cbranch_execz .LBB13_6
; %bb.16:                               ;   in Loop: Header=BB13_10 Depth=1
	s_and_b64 vcc, exec, s[24:25]
	s_cbranch_vccz .LBB13_19
; %bb.17:                               ;   in Loop: Header=BB13_10 Depth=1
	s_and_b64 vcc, exec, s[26:27]
	s_cbranch_vccz .LBB13_20
; %bb.18:                               ;   in Loop: Header=BB13_10 Depth=1
	v_cmp_le_i32_e32 vcc, v6, v12
	s_mov_b32 s9, 7
	s_and_b64 s[2:3], vcc, exec
	s_cbranch_execz .LBB13_21
	s_branch .LBB13_22
.LBB13_19:                              ;   in Loop: Header=BB13_10 Depth=1
	s_mov_b32 s9, 2
	s_branch .LBB13_22
.LBB13_20:                              ;   in Loop: Header=BB13_10 Depth=1
	s_mov_b64 s[2:3], 0
	s_mov_b32 s9, 2
.LBB13_21:                              ;   in Loop: Header=BB13_10 Depth=1
	v_cmp_ge_i32_e32 vcc, v6, v12
	s_andn2_b64 s[2:3], s[2:3], exec
	s_and_b64 s[48:49], vcc, exec
	s_mov_b32 s9, 7
	s_or_b64 s[2:3], s[2:3], s[48:49]
.LBB13_22:                              ;   in Loop: Header=BB13_10 Depth=1
	v_mov_b32_e32 v10, s9
	s_mov_b64 s[50:51], -1
	s_and_saveexec_b64 s[48:49], s[2:3]
	s_cbranch_execz .LBB13_5
; %bb.23:                               ;   in Loop: Header=BB13_10 Depth=1
	s_nor_b64 s[2:3], s[14:15], s[44:45]
	s_mov_b64 s[44:45], -1
	v_mov_b32_e32 v10, s9
	s_and_saveexec_b64 s[50:51], s[2:3]
	s_cbranch_execz .LBB13_25
; %bb.24:                               ;   in Loop: Header=BB13_10 Depth=1
	global_load_dword v1, v[2:3], off offset:-4
	v_mov_b32_e32 v10, 6
	s_waitcnt vmcnt(0)
	v_subrev_u32_e32 v2, s12, v1
	v_cmp_lt_i32_e64 s[0:1], -1, v2
	v_cmp_gt_i32_e64 s[2:3], s17, v2
	s_and_b64 s[0:1], s[0:1], s[2:3]
	v_cmp_gt_i32_e32 vcc, v11, v1
	s_xor_b64 s[0:1], s[0:1], -1
	s_or_b64 s[0:1], vcc, s[0:1]
	s_orn2_b64 s[0:1], s[0:1], exec
.LBB13_25:                              ;   in Loop: Header=BB13_10 Depth=1
	s_or_b64 exec, exec, s[50:51]
	s_mov_b64 s[2:3], -1
	s_and_saveexec_b64 s[50:51], s[0:1]
	s_cbranch_execz .LBB13_4
; %bb.26:                               ;   in Loop: Header=BB13_10 Depth=1
	v_add_u32_e32 v0, 64, v0
	v_cmp_ge_i32_e32 vcc, v0, v8
	s_xor_b64 s[2:3], exec, -1
	s_orn2_b64 s[44:45], vcc, exec
	s_branch .LBB13_4
.LBB13_27:
	s_or_b64 exec, exec, s[22:23]
	s_and_b64 s[0:1], s[30:31], exec
.LBB13_28:
	s_or_b64 exec, exec, s[18:19]
	s_orn2_b64 s[8:9], s[0:1], exec
.LBB13_29:
	s_or_b64 exec, exec, s[6:7]
	s_and_b64 exec, exec, s[8:9]
	s_cbranch_execz .LBB13_31
; %bb.30:
	s_load_dwordx2 s[0:1], s[4:5], 0x40
	v_mov_b32_e32 v0, 0
	s_waitcnt lgkmcnt(0)
	global_store_dword v0, v10, s[0:1]
.LBB13_31:
	s_endpgm
	.section	.rodata,"a",@progbits
	.p2align	6, 0x0
	.amdhsa_kernel _ZN9rocsparseL23check_matrix_csr_deviceILj256ELj64EdiiEEvT3_S1_T2_PKT1_PKS2_PKS1_S9_21rocsparse_index_base_22rocsparse_matrix_type_20rocsparse_fill_mode_23rocsparse_storage_mode_P22rocsparse_data_status_
		.amdhsa_group_segment_fixed_size 0
		.amdhsa_private_segment_fixed_size 0
		.amdhsa_kernarg_size 72
		.amdhsa_user_sgpr_count 6
		.amdhsa_user_sgpr_private_segment_buffer 1
		.amdhsa_user_sgpr_dispatch_ptr 0
		.amdhsa_user_sgpr_queue_ptr 0
		.amdhsa_user_sgpr_kernarg_segment_ptr 1
		.amdhsa_user_sgpr_dispatch_id 0
		.amdhsa_user_sgpr_flat_scratch_init 0
		.amdhsa_user_sgpr_private_segment_size 0
		.amdhsa_uses_dynamic_stack 0
		.amdhsa_system_sgpr_private_segment_wavefront_offset 0
		.amdhsa_system_sgpr_workgroup_id_x 1
		.amdhsa_system_sgpr_workgroup_id_y 0
		.amdhsa_system_sgpr_workgroup_id_z 0
		.amdhsa_system_sgpr_workgroup_info 0
		.amdhsa_system_vgpr_workitem_id 0
		.amdhsa_next_free_vgpr 14
		.amdhsa_next_free_sgpr 52
		.amdhsa_reserve_vcc 1
		.amdhsa_reserve_flat_scratch 0
		.amdhsa_float_round_mode_32 0
		.amdhsa_float_round_mode_16_64 0
		.amdhsa_float_denorm_mode_32 3
		.amdhsa_float_denorm_mode_16_64 3
		.amdhsa_dx10_clamp 1
		.amdhsa_ieee_mode 1
		.amdhsa_fp16_overflow 0
		.amdhsa_exception_fp_ieee_invalid_op 0
		.amdhsa_exception_fp_denorm_src 0
		.amdhsa_exception_fp_ieee_div_zero 0
		.amdhsa_exception_fp_ieee_overflow 0
		.amdhsa_exception_fp_ieee_underflow 0
		.amdhsa_exception_fp_ieee_inexact 0
		.amdhsa_exception_int_div_zero 0
	.end_amdhsa_kernel
	.section	.text._ZN9rocsparseL23check_matrix_csr_deviceILj256ELj64EdiiEEvT3_S1_T2_PKT1_PKS2_PKS1_S9_21rocsparse_index_base_22rocsparse_matrix_type_20rocsparse_fill_mode_23rocsparse_storage_mode_P22rocsparse_data_status_,"axG",@progbits,_ZN9rocsparseL23check_matrix_csr_deviceILj256ELj64EdiiEEvT3_S1_T2_PKT1_PKS2_PKS1_S9_21rocsparse_index_base_22rocsparse_matrix_type_20rocsparse_fill_mode_23rocsparse_storage_mode_P22rocsparse_data_status_,comdat
.Lfunc_end13:
	.size	_ZN9rocsparseL23check_matrix_csr_deviceILj256ELj64EdiiEEvT3_S1_T2_PKT1_PKS2_PKS1_S9_21rocsparse_index_base_22rocsparse_matrix_type_20rocsparse_fill_mode_23rocsparse_storage_mode_P22rocsparse_data_status_, .Lfunc_end13-_ZN9rocsparseL23check_matrix_csr_deviceILj256ELj64EdiiEEvT3_S1_T2_PKT1_PKS2_PKS1_S9_21rocsparse_index_base_22rocsparse_matrix_type_20rocsparse_fill_mode_23rocsparse_storage_mode_P22rocsparse_data_status_
                                        ; -- End function
	.set _ZN9rocsparseL23check_matrix_csr_deviceILj256ELj64EdiiEEvT3_S1_T2_PKT1_PKS2_PKS1_S9_21rocsparse_index_base_22rocsparse_matrix_type_20rocsparse_fill_mode_23rocsparse_storage_mode_P22rocsparse_data_status_.num_vgpr, 14
	.set _ZN9rocsparseL23check_matrix_csr_deviceILj256ELj64EdiiEEvT3_S1_T2_PKT1_PKS2_PKS1_S9_21rocsparse_index_base_22rocsparse_matrix_type_20rocsparse_fill_mode_23rocsparse_storage_mode_P22rocsparse_data_status_.num_agpr, 0
	.set _ZN9rocsparseL23check_matrix_csr_deviceILj256ELj64EdiiEEvT3_S1_T2_PKT1_PKS2_PKS1_S9_21rocsparse_index_base_22rocsparse_matrix_type_20rocsparse_fill_mode_23rocsparse_storage_mode_P22rocsparse_data_status_.numbered_sgpr, 52
	.set _ZN9rocsparseL23check_matrix_csr_deviceILj256ELj64EdiiEEvT3_S1_T2_PKT1_PKS2_PKS1_S9_21rocsparse_index_base_22rocsparse_matrix_type_20rocsparse_fill_mode_23rocsparse_storage_mode_P22rocsparse_data_status_.num_named_barrier, 0
	.set _ZN9rocsparseL23check_matrix_csr_deviceILj256ELj64EdiiEEvT3_S1_T2_PKT1_PKS2_PKS1_S9_21rocsparse_index_base_22rocsparse_matrix_type_20rocsparse_fill_mode_23rocsparse_storage_mode_P22rocsparse_data_status_.private_seg_size, 0
	.set _ZN9rocsparseL23check_matrix_csr_deviceILj256ELj64EdiiEEvT3_S1_T2_PKT1_PKS2_PKS1_S9_21rocsparse_index_base_22rocsparse_matrix_type_20rocsparse_fill_mode_23rocsparse_storage_mode_P22rocsparse_data_status_.uses_vcc, 1
	.set _ZN9rocsparseL23check_matrix_csr_deviceILj256ELj64EdiiEEvT3_S1_T2_PKT1_PKS2_PKS1_S9_21rocsparse_index_base_22rocsparse_matrix_type_20rocsparse_fill_mode_23rocsparse_storage_mode_P22rocsparse_data_status_.uses_flat_scratch, 0
	.set _ZN9rocsparseL23check_matrix_csr_deviceILj256ELj64EdiiEEvT3_S1_T2_PKT1_PKS2_PKS1_S9_21rocsparse_index_base_22rocsparse_matrix_type_20rocsparse_fill_mode_23rocsparse_storage_mode_P22rocsparse_data_status_.has_dyn_sized_stack, 0
	.set _ZN9rocsparseL23check_matrix_csr_deviceILj256ELj64EdiiEEvT3_S1_T2_PKT1_PKS2_PKS1_S9_21rocsparse_index_base_22rocsparse_matrix_type_20rocsparse_fill_mode_23rocsparse_storage_mode_P22rocsparse_data_status_.has_recursion, 0
	.set _ZN9rocsparseL23check_matrix_csr_deviceILj256ELj64EdiiEEvT3_S1_T2_PKT1_PKS2_PKS1_S9_21rocsparse_index_base_22rocsparse_matrix_type_20rocsparse_fill_mode_23rocsparse_storage_mode_P22rocsparse_data_status_.has_indirect_call, 0
	.section	.AMDGPU.csdata,"",@progbits
; Kernel info:
; codeLenInByte = 848
; TotalNumSgprs: 56
; NumVgprs: 14
; ScratchSize: 0
; MemoryBound: 0
; FloatMode: 240
; IeeeMode: 1
; LDSByteSize: 0 bytes/workgroup (compile time only)
; SGPRBlocks: 6
; VGPRBlocks: 3
; NumSGPRsForWavesPerEU: 56
; NumVGPRsForWavesPerEU: 14
; Occupancy: 10
; WaveLimiterHint : 0
; COMPUTE_PGM_RSRC2:SCRATCH_EN: 0
; COMPUTE_PGM_RSRC2:USER_SGPR: 6
; COMPUTE_PGM_RSRC2:TRAP_HANDLER: 0
; COMPUTE_PGM_RSRC2:TGID_X_EN: 1
; COMPUTE_PGM_RSRC2:TGID_Y_EN: 0
; COMPUTE_PGM_RSRC2:TGID_Z_EN: 0
; COMPUTE_PGM_RSRC2:TIDIG_COMP_CNT: 0
	.section	.text._ZN9rocsparseL23check_matrix_csr_deviceILj256ELj128EdiiEEvT3_S1_T2_PKT1_PKS2_PKS1_S9_21rocsparse_index_base_22rocsparse_matrix_type_20rocsparse_fill_mode_23rocsparse_storage_mode_P22rocsparse_data_status_,"axG",@progbits,_ZN9rocsparseL23check_matrix_csr_deviceILj256ELj128EdiiEEvT3_S1_T2_PKT1_PKS2_PKS1_S9_21rocsparse_index_base_22rocsparse_matrix_type_20rocsparse_fill_mode_23rocsparse_storage_mode_P22rocsparse_data_status_,comdat
	.globl	_ZN9rocsparseL23check_matrix_csr_deviceILj256ELj128EdiiEEvT3_S1_T2_PKT1_PKS2_PKS1_S9_21rocsparse_index_base_22rocsparse_matrix_type_20rocsparse_fill_mode_23rocsparse_storage_mode_P22rocsparse_data_status_ ; -- Begin function _ZN9rocsparseL23check_matrix_csr_deviceILj256ELj128EdiiEEvT3_S1_T2_PKT1_PKS2_PKS1_S9_21rocsparse_index_base_22rocsparse_matrix_type_20rocsparse_fill_mode_23rocsparse_storage_mode_P22rocsparse_data_status_
	.p2align	8
	.type	_ZN9rocsparseL23check_matrix_csr_deviceILj256ELj128EdiiEEvT3_S1_T2_PKT1_PKS2_PKS1_S9_21rocsparse_index_base_22rocsparse_matrix_type_20rocsparse_fill_mode_23rocsparse_storage_mode_P22rocsparse_data_status_,@function
_ZN9rocsparseL23check_matrix_csr_deviceILj256ELj128EdiiEEvT3_S1_T2_PKT1_PKS2_PKS1_S9_21rocsparse_index_base_22rocsparse_matrix_type_20rocsparse_fill_mode_23rocsparse_storage_mode_P22rocsparse_data_status_: ; @_ZN9rocsparseL23check_matrix_csr_deviceILj256ELj128EdiiEEvT3_S1_T2_PKT1_PKS2_PKS1_S9_21rocsparse_index_base_22rocsparse_matrix_type_20rocsparse_fill_mode_23rocsparse_storage_mode_P22rocsparse_data_status_
; %bb.0:
	s_load_dwordx2 s[16:17], s[4:5], 0x0
	v_lshl_or_b32 v1, s6, 8, v0
	v_lshrrev_b32_e32 v6, 7, v1
	s_waitcnt lgkmcnt(0)
	v_cmp_gt_i32_e32 vcc, s16, v6
	s_and_saveexec_b64 s[0:1], vcc
	s_cbranch_execz .LBB14_31
; %bb.1:
	s_load_dwordx2 s[0:1], s[4:5], 0x18
	v_lshlrev_b32_e32 v1, 2, v6
	s_mov_b64 s[8:9], -1
	v_mov_b32_e32 v10, 3
	s_waitcnt lgkmcnt(0)
	global_load_dwordx2 v[1:2], v1, s[0:1]
	s_load_dword s0, s[0:1], 0x0
	s_waitcnt vmcnt(0) lgkmcnt(0)
	v_subrev_u32_e32 v8, s0, v2
	v_cmp_lt_i32_e32 vcc, v2, v1
	v_cmp_gt_i32_e64 s[2:3], 0, v8
	v_subrev_u32_e32 v7, s0, v1
	s_or_b64 s[2:3], s[2:3], vcc
	v_cmp_lt_i32_e64 s[0:1], -1, v7
	s_xor_b64 s[2:3], s[2:3], -1
	s_and_b64 s[0:1], s[0:1], s[2:3]
	s_and_saveexec_b64 s[6:7], s[0:1]
	s_cbranch_execz .LBB14_29
; %bb.2:
	v_and_b32_e32 v0, 0x7f, v0
	v_add_u32_e32 v0, v7, v0
	v_cmp_lt_u32_e32 vcc, v0, v8
	s_mov_b64 s[0:1], 0
	v_mov_b32_e32 v10, 3
	s_and_saveexec_b64 s[18:19], vcc
	s_cbranch_execz .LBB14_28
; %bb.3:
	s_load_dwordx8 s[8:15], s[4:5], 0x20
	s_load_dwordx2 s[20:21], s[4:5], 0x10
	s_mov_b32 s28, 0
	s_mov_b64 s[22:23], 0
	s_mov_b32 s29, 0x7ff00000
	s_waitcnt lgkmcnt(0)
	s_cmp_lg_u32 s13, 0
	s_cselect_b64 s[24:25], -1, 0
	s_cmp_lg_u32 s14, 0
	s_cselect_b64 s[26:27], -1, 0
	;; [unrolled: 2-line block ×3, first 2 shown]
	v_mov_b32_e32 v9, s9
                                        ; implicit-def: $sgpr30_sgpr31
                                        ; implicit-def: $sgpr34_sgpr35
                                        ; implicit-def: $sgpr36_sgpr37
	s_branch .LBB14_10
.LBB14_4:                               ;   in Loop: Header=BB14_10 Depth=1
	s_or_b64 exec, exec, s[50:51]
	s_orn2_b64 s[50:51], s[2:3], exec
	s_orn2_b64 s[0:1], s[44:45], exec
.LBB14_5:                               ;   in Loop: Header=BB14_10 Depth=1
	s_or_b64 exec, exec, s[48:49]
	s_orn2_b64 s[2:3], s[50:51], exec
	s_orn2_b64 s[0:1], s[0:1], exec
.LBB14_6:                               ;   in Loop: Header=BB14_10 Depth=1
	s_or_b64 exec, exec, s[46:47]
	s_orn2_b64 s[2:3], s[2:3], exec
	s_orn2_b64 s[0:1], s[0:1], exec
.LBB14_7:                               ;   in Loop: Header=BB14_10 Depth=1
	s_or_b64 exec, exec, s[42:43]
	s_orn2_b64 s[2:3], s[2:3], exec
	s_orn2_b64 s[0:1], s[0:1], exec
.LBB14_8:                               ;   in Loop: Header=BB14_10 Depth=1
	s_or_b64 exec, exec, s[40:41]
	s_andn2_b64 s[36:37], s[36:37], exec
	s_and_b64 s[2:3], s[2:3], exec
	s_or_b64 s[36:37], s[36:37], s[2:3]
	s_andn2_b64 s[2:3], s[34:35], exec
	s_and_b64 s[0:1], s[0:1], exec
	s_or_b64 s[34:35], s[2:3], s[0:1]
.LBB14_9:                               ;   in Loop: Header=BB14_10 Depth=1
	s_or_b64 exec, exec, s[38:39]
	s_and_b64 s[0:1], exec, s[34:35]
	s_or_b64 s[22:23], s[0:1], s[22:23]
	s_andn2_b64 s[0:1], s[30:31], exec
	s_and_b64 s[2:3], s[36:37], exec
	s_or_b64 s[30:31], s[0:1], s[2:3]
	s_andn2_b64 exec, exec, s[22:23]
	s_cbranch_execz .LBB14_27
.LBB14_10:                              ; =>This Inner Loop Header: Depth=1
	v_ashrrev_i32_e32 v1, 31, v0
	v_lshlrev_b64 v[4:5], 2, v[0:1]
	v_mov_b32_e32 v10, 4
	v_add_co_u32_e32 v2, vcc, s8, v4
	v_addc_co_u32_e32 v3, vcc, v9, v5, vcc
	global_load_dword v11, v[2:3], off
	s_or_b64 s[36:37], s[36:37], exec
	s_or_b64 s[34:35], s[34:35], exec
	s_waitcnt vmcnt(0)
	v_subrev_u32_e32 v12, s12, v11
	v_cmp_lt_i32_e32 vcc, -1, v12
	v_cmp_gt_i32_e64 s[0:1], s17, v12
	s_and_b64 s[0:1], vcc, s[0:1]
	s_and_saveexec_b64 s[38:39], s[0:1]
	s_cbranch_execz .LBB14_9
; %bb.11:                               ;   in Loop: Header=BB14_10 Depth=1
	v_cmp_le_i32_e64 s[44:45], v0, v7
	v_cmp_gt_i32_e32 vcc, v0, v7
	v_mov_b32_e32 v10, 4
	s_mov_b64 s[42:43], s[44:45]
	s_and_saveexec_b64 s[40:41], vcc
	s_cbranch_execz .LBB14_13
; %bb.12:                               ;   in Loop: Header=BB14_10 Depth=1
	v_mov_b32_e32 v10, s11
	v_add_co_u32_e32 v4, vcc, s10, v4
	v_addc_co_u32_e32 v5, vcc, v10, v5, vcc
	global_load_dwordx2 v[4:5], v[4:5], off offset:-4
	v_mov_b32_e32 v10, 5
	s_waitcnt vmcnt(0)
	v_subrev_u32_e32 v13, s12, v4
	v_cmp_lt_i32_e64 s[0:1], -1, v13
	v_cmp_gt_i32_e64 s[2:3], s17, v13
	s_and_b64 s[0:1], s[0:1], s[2:3]
	v_cmp_ne_u32_e32 vcc, v5, v4
	s_xor_b64 s[0:1], s[0:1], -1
	s_or_b64 s[0:1], vcc, s[0:1]
	s_andn2_b64 s[2:3], s[44:45], exec
	s_and_b64 s[0:1], s[0:1], exec
	s_or_b64 s[42:43], s[2:3], s[0:1]
.LBB14_13:                              ;   in Loop: Header=BB14_10 Depth=1
	s_or_b64 exec, exec, s[40:41]
	s_mov_b64 s[0:1], -1
	s_mov_b64 s[2:3], -1
	s_and_saveexec_b64 s[40:41], s[42:43]
	s_cbranch_execz .LBB14_8
; %bb.14:                               ;   in Loop: Header=BB14_10 Depth=1
	v_lshlrev_b64 v[4:5], 3, v[0:1]
	v_mov_b32_e32 v1, s21
	v_add_co_u32_e32 v4, vcc, s20, v4
	v_addc_co_u32_e32 v5, vcc, v1, v5, vcc
	global_load_dwordx2 v[4:5], v[4:5], off
	v_mov_b32_e32 v10, 1
	s_waitcnt vmcnt(0)
	v_cmp_neq_f64_e32 vcc, s[28:29], v[4:5]
	s_and_saveexec_b64 s[42:43], vcc
	s_cbranch_execz .LBB14_7
; %bb.15:                               ;   in Loop: Header=BB14_10 Depth=1
	v_cmp_o_f64_e32 vcc, v[4:5], v[4:5]
	v_mov_b32_e32 v10, 2
	s_and_saveexec_b64 s[46:47], vcc
	s_cbranch_execz .LBB14_6
; %bb.16:                               ;   in Loop: Header=BB14_10 Depth=1
	s_and_b64 vcc, exec, s[24:25]
	s_cbranch_vccz .LBB14_19
; %bb.17:                               ;   in Loop: Header=BB14_10 Depth=1
	s_and_b64 vcc, exec, s[26:27]
	s_cbranch_vccz .LBB14_20
; %bb.18:                               ;   in Loop: Header=BB14_10 Depth=1
	v_cmp_le_i32_e32 vcc, v6, v12
	s_mov_b32 s9, 7
	s_and_b64 s[2:3], vcc, exec
	s_cbranch_execz .LBB14_21
	s_branch .LBB14_22
.LBB14_19:                              ;   in Loop: Header=BB14_10 Depth=1
	s_mov_b32 s9, 2
	s_branch .LBB14_22
.LBB14_20:                              ;   in Loop: Header=BB14_10 Depth=1
	s_mov_b64 s[2:3], 0
	s_mov_b32 s9, 2
.LBB14_21:                              ;   in Loop: Header=BB14_10 Depth=1
	v_cmp_ge_i32_e32 vcc, v6, v12
	s_andn2_b64 s[2:3], s[2:3], exec
	s_and_b64 s[48:49], vcc, exec
	s_mov_b32 s9, 7
	s_or_b64 s[2:3], s[2:3], s[48:49]
.LBB14_22:                              ;   in Loop: Header=BB14_10 Depth=1
	v_mov_b32_e32 v10, s9
	s_mov_b64 s[50:51], -1
	s_and_saveexec_b64 s[48:49], s[2:3]
	s_cbranch_execz .LBB14_5
; %bb.23:                               ;   in Loop: Header=BB14_10 Depth=1
	s_nor_b64 s[2:3], s[14:15], s[44:45]
	s_mov_b64 s[44:45], -1
	v_mov_b32_e32 v10, s9
	s_and_saveexec_b64 s[50:51], s[2:3]
	s_cbranch_execz .LBB14_25
; %bb.24:                               ;   in Loop: Header=BB14_10 Depth=1
	global_load_dword v1, v[2:3], off offset:-4
	v_mov_b32_e32 v10, 6
	s_waitcnt vmcnt(0)
	v_subrev_u32_e32 v2, s12, v1
	v_cmp_lt_i32_e64 s[0:1], -1, v2
	v_cmp_gt_i32_e64 s[2:3], s17, v2
	s_and_b64 s[0:1], s[0:1], s[2:3]
	v_cmp_gt_i32_e32 vcc, v11, v1
	s_xor_b64 s[0:1], s[0:1], -1
	s_or_b64 s[0:1], vcc, s[0:1]
	s_orn2_b64 s[0:1], s[0:1], exec
.LBB14_25:                              ;   in Loop: Header=BB14_10 Depth=1
	s_or_b64 exec, exec, s[50:51]
	s_mov_b64 s[2:3], -1
	s_and_saveexec_b64 s[50:51], s[0:1]
	s_cbranch_execz .LBB14_4
; %bb.26:                               ;   in Loop: Header=BB14_10 Depth=1
	v_add_u32_e32 v0, 0x80, v0
	v_cmp_ge_i32_e32 vcc, v0, v8
	s_xor_b64 s[2:3], exec, -1
	s_orn2_b64 s[44:45], vcc, exec
	s_branch .LBB14_4
.LBB14_27:
	s_or_b64 exec, exec, s[22:23]
	s_and_b64 s[0:1], s[30:31], exec
.LBB14_28:
	s_or_b64 exec, exec, s[18:19]
	s_orn2_b64 s[8:9], s[0:1], exec
.LBB14_29:
	s_or_b64 exec, exec, s[6:7]
	s_and_b64 exec, exec, s[8:9]
	s_cbranch_execz .LBB14_31
; %bb.30:
	s_load_dwordx2 s[0:1], s[4:5], 0x40
	v_mov_b32_e32 v0, 0
	s_waitcnt lgkmcnt(0)
	global_store_dword v0, v10, s[0:1]
.LBB14_31:
	s_endpgm
	.section	.rodata,"a",@progbits
	.p2align	6, 0x0
	.amdhsa_kernel _ZN9rocsparseL23check_matrix_csr_deviceILj256ELj128EdiiEEvT3_S1_T2_PKT1_PKS2_PKS1_S9_21rocsparse_index_base_22rocsparse_matrix_type_20rocsparse_fill_mode_23rocsparse_storage_mode_P22rocsparse_data_status_
		.amdhsa_group_segment_fixed_size 0
		.amdhsa_private_segment_fixed_size 0
		.amdhsa_kernarg_size 72
		.amdhsa_user_sgpr_count 6
		.amdhsa_user_sgpr_private_segment_buffer 1
		.amdhsa_user_sgpr_dispatch_ptr 0
		.amdhsa_user_sgpr_queue_ptr 0
		.amdhsa_user_sgpr_kernarg_segment_ptr 1
		.amdhsa_user_sgpr_dispatch_id 0
		.amdhsa_user_sgpr_flat_scratch_init 0
		.amdhsa_user_sgpr_private_segment_size 0
		.amdhsa_uses_dynamic_stack 0
		.amdhsa_system_sgpr_private_segment_wavefront_offset 0
		.amdhsa_system_sgpr_workgroup_id_x 1
		.amdhsa_system_sgpr_workgroup_id_y 0
		.amdhsa_system_sgpr_workgroup_id_z 0
		.amdhsa_system_sgpr_workgroup_info 0
		.amdhsa_system_vgpr_workitem_id 0
		.amdhsa_next_free_vgpr 14
		.amdhsa_next_free_sgpr 52
		.amdhsa_reserve_vcc 1
		.amdhsa_reserve_flat_scratch 0
		.amdhsa_float_round_mode_32 0
		.amdhsa_float_round_mode_16_64 0
		.amdhsa_float_denorm_mode_32 3
		.amdhsa_float_denorm_mode_16_64 3
		.amdhsa_dx10_clamp 1
		.amdhsa_ieee_mode 1
		.amdhsa_fp16_overflow 0
		.amdhsa_exception_fp_ieee_invalid_op 0
		.amdhsa_exception_fp_denorm_src 0
		.amdhsa_exception_fp_ieee_div_zero 0
		.amdhsa_exception_fp_ieee_overflow 0
		.amdhsa_exception_fp_ieee_underflow 0
		.amdhsa_exception_fp_ieee_inexact 0
		.amdhsa_exception_int_div_zero 0
	.end_amdhsa_kernel
	.section	.text._ZN9rocsparseL23check_matrix_csr_deviceILj256ELj128EdiiEEvT3_S1_T2_PKT1_PKS2_PKS1_S9_21rocsparse_index_base_22rocsparse_matrix_type_20rocsparse_fill_mode_23rocsparse_storage_mode_P22rocsparse_data_status_,"axG",@progbits,_ZN9rocsparseL23check_matrix_csr_deviceILj256ELj128EdiiEEvT3_S1_T2_PKT1_PKS2_PKS1_S9_21rocsparse_index_base_22rocsparse_matrix_type_20rocsparse_fill_mode_23rocsparse_storage_mode_P22rocsparse_data_status_,comdat
.Lfunc_end14:
	.size	_ZN9rocsparseL23check_matrix_csr_deviceILj256ELj128EdiiEEvT3_S1_T2_PKT1_PKS2_PKS1_S9_21rocsparse_index_base_22rocsparse_matrix_type_20rocsparse_fill_mode_23rocsparse_storage_mode_P22rocsparse_data_status_, .Lfunc_end14-_ZN9rocsparseL23check_matrix_csr_deviceILj256ELj128EdiiEEvT3_S1_T2_PKT1_PKS2_PKS1_S9_21rocsparse_index_base_22rocsparse_matrix_type_20rocsparse_fill_mode_23rocsparse_storage_mode_P22rocsparse_data_status_
                                        ; -- End function
	.set _ZN9rocsparseL23check_matrix_csr_deviceILj256ELj128EdiiEEvT3_S1_T2_PKT1_PKS2_PKS1_S9_21rocsparse_index_base_22rocsparse_matrix_type_20rocsparse_fill_mode_23rocsparse_storage_mode_P22rocsparse_data_status_.num_vgpr, 14
	.set _ZN9rocsparseL23check_matrix_csr_deviceILj256ELj128EdiiEEvT3_S1_T2_PKT1_PKS2_PKS1_S9_21rocsparse_index_base_22rocsparse_matrix_type_20rocsparse_fill_mode_23rocsparse_storage_mode_P22rocsparse_data_status_.num_agpr, 0
	.set _ZN9rocsparseL23check_matrix_csr_deviceILj256ELj128EdiiEEvT3_S1_T2_PKT1_PKS2_PKS1_S9_21rocsparse_index_base_22rocsparse_matrix_type_20rocsparse_fill_mode_23rocsparse_storage_mode_P22rocsparse_data_status_.numbered_sgpr, 52
	.set _ZN9rocsparseL23check_matrix_csr_deviceILj256ELj128EdiiEEvT3_S1_T2_PKT1_PKS2_PKS1_S9_21rocsparse_index_base_22rocsparse_matrix_type_20rocsparse_fill_mode_23rocsparse_storage_mode_P22rocsparse_data_status_.num_named_barrier, 0
	.set _ZN9rocsparseL23check_matrix_csr_deviceILj256ELj128EdiiEEvT3_S1_T2_PKT1_PKS2_PKS1_S9_21rocsparse_index_base_22rocsparse_matrix_type_20rocsparse_fill_mode_23rocsparse_storage_mode_P22rocsparse_data_status_.private_seg_size, 0
	.set _ZN9rocsparseL23check_matrix_csr_deviceILj256ELj128EdiiEEvT3_S1_T2_PKT1_PKS2_PKS1_S9_21rocsparse_index_base_22rocsparse_matrix_type_20rocsparse_fill_mode_23rocsparse_storage_mode_P22rocsparse_data_status_.uses_vcc, 1
	.set _ZN9rocsparseL23check_matrix_csr_deviceILj256ELj128EdiiEEvT3_S1_T2_PKT1_PKS2_PKS1_S9_21rocsparse_index_base_22rocsparse_matrix_type_20rocsparse_fill_mode_23rocsparse_storage_mode_P22rocsparse_data_status_.uses_flat_scratch, 0
	.set _ZN9rocsparseL23check_matrix_csr_deviceILj256ELj128EdiiEEvT3_S1_T2_PKT1_PKS2_PKS1_S9_21rocsparse_index_base_22rocsparse_matrix_type_20rocsparse_fill_mode_23rocsparse_storage_mode_P22rocsparse_data_status_.has_dyn_sized_stack, 0
	.set _ZN9rocsparseL23check_matrix_csr_deviceILj256ELj128EdiiEEvT3_S1_T2_PKT1_PKS2_PKS1_S9_21rocsparse_index_base_22rocsparse_matrix_type_20rocsparse_fill_mode_23rocsparse_storage_mode_P22rocsparse_data_status_.has_recursion, 0
	.set _ZN9rocsparseL23check_matrix_csr_deviceILj256ELj128EdiiEEvT3_S1_T2_PKT1_PKS2_PKS1_S9_21rocsparse_index_base_22rocsparse_matrix_type_20rocsparse_fill_mode_23rocsparse_storage_mode_P22rocsparse_data_status_.has_indirect_call, 0
	.section	.AMDGPU.csdata,"",@progbits
; Kernel info:
; codeLenInByte = 856
; TotalNumSgprs: 56
; NumVgprs: 14
; ScratchSize: 0
; MemoryBound: 0
; FloatMode: 240
; IeeeMode: 1
; LDSByteSize: 0 bytes/workgroup (compile time only)
; SGPRBlocks: 6
; VGPRBlocks: 3
; NumSGPRsForWavesPerEU: 56
; NumVGPRsForWavesPerEU: 14
; Occupancy: 10
; WaveLimiterHint : 0
; COMPUTE_PGM_RSRC2:SCRATCH_EN: 0
; COMPUTE_PGM_RSRC2:USER_SGPR: 6
; COMPUTE_PGM_RSRC2:TRAP_HANDLER: 0
; COMPUTE_PGM_RSRC2:TGID_X_EN: 1
; COMPUTE_PGM_RSRC2:TGID_Y_EN: 0
; COMPUTE_PGM_RSRC2:TGID_Z_EN: 0
; COMPUTE_PGM_RSRC2:TIDIG_COMP_CNT: 0
	.section	.text._ZN9rocsparseL23check_matrix_csr_deviceILj256ELj256EdiiEEvT3_S1_T2_PKT1_PKS2_PKS1_S9_21rocsparse_index_base_22rocsparse_matrix_type_20rocsparse_fill_mode_23rocsparse_storage_mode_P22rocsparse_data_status_,"axG",@progbits,_ZN9rocsparseL23check_matrix_csr_deviceILj256ELj256EdiiEEvT3_S1_T2_PKT1_PKS2_PKS1_S9_21rocsparse_index_base_22rocsparse_matrix_type_20rocsparse_fill_mode_23rocsparse_storage_mode_P22rocsparse_data_status_,comdat
	.globl	_ZN9rocsparseL23check_matrix_csr_deviceILj256ELj256EdiiEEvT3_S1_T2_PKT1_PKS2_PKS1_S9_21rocsparse_index_base_22rocsparse_matrix_type_20rocsparse_fill_mode_23rocsparse_storage_mode_P22rocsparse_data_status_ ; -- Begin function _ZN9rocsparseL23check_matrix_csr_deviceILj256ELj256EdiiEEvT3_S1_T2_PKT1_PKS2_PKS1_S9_21rocsparse_index_base_22rocsparse_matrix_type_20rocsparse_fill_mode_23rocsparse_storage_mode_P22rocsparse_data_status_
	.p2align	8
	.type	_ZN9rocsparseL23check_matrix_csr_deviceILj256ELj256EdiiEEvT3_S1_T2_PKT1_PKS2_PKS1_S9_21rocsparse_index_base_22rocsparse_matrix_type_20rocsparse_fill_mode_23rocsparse_storage_mode_P22rocsparse_data_status_,@function
_ZN9rocsparseL23check_matrix_csr_deviceILj256ELj256EdiiEEvT3_S1_T2_PKT1_PKS2_PKS1_S9_21rocsparse_index_base_22rocsparse_matrix_type_20rocsparse_fill_mode_23rocsparse_storage_mode_P22rocsparse_data_status_: ; @_ZN9rocsparseL23check_matrix_csr_deviceILj256ELj256EdiiEEvT3_S1_T2_PKT1_PKS2_PKS1_S9_21rocsparse_index_base_22rocsparse_matrix_type_20rocsparse_fill_mode_23rocsparse_storage_mode_P22rocsparse_data_status_
; %bb.0:
	s_load_dwordx2 s[16:17], s[4:5], 0x0
	s_and_b32 s33, s6, 0xffffff
	s_waitcnt lgkmcnt(0)
	s_cmp_lt_i32 s33, s16
	s_cselect_b64 s[0:1], -1, 0
	s_and_saveexec_b64 s[2:3], s[0:1]
	s_cbranch_execz .LBB15_31
; %bb.1:
	s_load_dwordx2 s[0:1], s[4:5], 0x18
	v_lshlrev_b32_e64 v1, 2, s33
	s_mov_b64 s[8:9], -1
	v_mov_b32_e32 v9, 3
	s_waitcnt lgkmcnt(0)
	global_load_dwordx2 v[1:2], v1, s[0:1]
	s_load_dword s0, s[0:1], 0x0
	s_waitcnt vmcnt(0) lgkmcnt(0)
	v_subrev_u32_e32 v7, s0, v2
	v_cmp_lt_i32_e32 vcc, v2, v1
	v_cmp_gt_i32_e64 s[2:3], 0, v7
	v_subrev_u32_e32 v6, s0, v1
	s_or_b64 s[2:3], s[2:3], vcc
	v_cmp_lt_i32_e64 s[0:1], -1, v6
	s_xor_b64 s[2:3], s[2:3], -1
	s_and_b64 s[0:1], s[0:1], s[2:3]
	s_and_saveexec_b64 s[6:7], s[0:1]
	s_cbranch_execz .LBB15_29
; %bb.2:
	v_add_u32_e32 v0, v6, v0
	v_cmp_lt_u32_e32 vcc, v0, v7
	s_mov_b64 s[0:1], 0
	v_mov_b32_e32 v9, 3
	s_and_saveexec_b64 s[18:19], vcc
	s_cbranch_execz .LBB15_28
; %bb.3:
	s_load_dwordx8 s[8:15], s[4:5], 0x20
	s_load_dwordx2 s[20:21], s[4:5], 0x10
	s_mov_b32 s28, 0
	s_mov_b64 s[22:23], 0
	s_mov_b32 s29, 0x7ff00000
	s_waitcnt lgkmcnt(0)
	s_cmp_lg_u32 s13, 0
	s_cselect_b64 s[24:25], -1, 0
	s_cmp_lg_u32 s14, 0
	s_cselect_b64 s[26:27], -1, 0
	;; [unrolled: 2-line block ×3, first 2 shown]
	v_mov_b32_e32 v8, s9
                                        ; implicit-def: $sgpr30_sgpr31
                                        ; implicit-def: $sgpr34_sgpr35
                                        ; implicit-def: $sgpr36_sgpr37
	s_branch .LBB15_10
.LBB15_4:                               ;   in Loop: Header=BB15_10 Depth=1
	s_or_b64 exec, exec, s[50:51]
	s_orn2_b64 s[50:51], s[2:3], exec
	s_orn2_b64 s[0:1], s[44:45], exec
.LBB15_5:                               ;   in Loop: Header=BB15_10 Depth=1
	s_or_b64 exec, exec, s[48:49]
	s_orn2_b64 s[2:3], s[50:51], exec
	s_orn2_b64 s[0:1], s[0:1], exec
.LBB15_6:                               ;   in Loop: Header=BB15_10 Depth=1
	s_or_b64 exec, exec, s[46:47]
	s_orn2_b64 s[2:3], s[2:3], exec
	s_orn2_b64 s[0:1], s[0:1], exec
.LBB15_7:                               ;   in Loop: Header=BB15_10 Depth=1
	s_or_b64 exec, exec, s[42:43]
	s_orn2_b64 s[2:3], s[2:3], exec
	s_orn2_b64 s[0:1], s[0:1], exec
.LBB15_8:                               ;   in Loop: Header=BB15_10 Depth=1
	s_or_b64 exec, exec, s[40:41]
	s_andn2_b64 s[36:37], s[36:37], exec
	s_and_b64 s[2:3], s[2:3], exec
	s_or_b64 s[36:37], s[36:37], s[2:3]
	s_andn2_b64 s[2:3], s[34:35], exec
	s_and_b64 s[0:1], s[0:1], exec
	s_or_b64 s[34:35], s[2:3], s[0:1]
.LBB15_9:                               ;   in Loop: Header=BB15_10 Depth=1
	s_or_b64 exec, exec, s[38:39]
	s_and_b64 s[0:1], exec, s[34:35]
	s_or_b64 s[22:23], s[0:1], s[22:23]
	s_andn2_b64 s[0:1], s[30:31], exec
	s_and_b64 s[2:3], s[36:37], exec
	s_or_b64 s[30:31], s[0:1], s[2:3]
	s_andn2_b64 exec, exec, s[22:23]
	s_cbranch_execz .LBB15_27
.LBB15_10:                              ; =>This Inner Loop Header: Depth=1
	v_ashrrev_i32_e32 v1, 31, v0
	v_lshlrev_b64 v[4:5], 2, v[0:1]
	v_mov_b32_e32 v9, 4
	v_add_co_u32_e32 v2, vcc, s8, v4
	v_addc_co_u32_e32 v3, vcc, v8, v5, vcc
	global_load_dword v10, v[2:3], off
	s_or_b64 s[36:37], s[36:37], exec
	s_or_b64 s[34:35], s[34:35], exec
	s_waitcnt vmcnt(0)
	v_subrev_u32_e32 v11, s12, v10
	v_cmp_lt_i32_e32 vcc, -1, v11
	v_cmp_gt_i32_e64 s[0:1], s17, v11
	s_and_b64 s[0:1], vcc, s[0:1]
	s_and_saveexec_b64 s[38:39], s[0:1]
	s_cbranch_execz .LBB15_9
; %bb.11:                               ;   in Loop: Header=BB15_10 Depth=1
	v_cmp_le_i32_e64 s[44:45], v0, v6
	v_cmp_gt_i32_e32 vcc, v0, v6
	v_mov_b32_e32 v9, 4
	s_mov_b64 s[42:43], s[44:45]
	s_and_saveexec_b64 s[40:41], vcc
	s_cbranch_execz .LBB15_13
; %bb.12:                               ;   in Loop: Header=BB15_10 Depth=1
	v_mov_b32_e32 v9, s11
	v_add_co_u32_e32 v4, vcc, s10, v4
	v_addc_co_u32_e32 v5, vcc, v9, v5, vcc
	global_load_dwordx2 v[4:5], v[4:5], off offset:-4
	v_mov_b32_e32 v9, 5
	s_waitcnt vmcnt(0)
	v_subrev_u32_e32 v12, s12, v4
	v_cmp_lt_i32_e64 s[0:1], -1, v12
	v_cmp_gt_i32_e64 s[2:3], s17, v12
	s_and_b64 s[0:1], s[0:1], s[2:3]
	v_cmp_ne_u32_e32 vcc, v5, v4
	s_xor_b64 s[0:1], s[0:1], -1
	s_or_b64 s[0:1], vcc, s[0:1]
	s_andn2_b64 s[2:3], s[44:45], exec
	s_and_b64 s[0:1], s[0:1], exec
	s_or_b64 s[42:43], s[2:3], s[0:1]
.LBB15_13:                              ;   in Loop: Header=BB15_10 Depth=1
	s_or_b64 exec, exec, s[40:41]
	s_mov_b64 s[0:1], -1
	s_mov_b64 s[2:3], -1
	s_and_saveexec_b64 s[40:41], s[42:43]
	s_cbranch_execz .LBB15_8
; %bb.14:                               ;   in Loop: Header=BB15_10 Depth=1
	v_lshlrev_b64 v[4:5], 3, v[0:1]
	v_mov_b32_e32 v1, s21
	v_add_co_u32_e32 v4, vcc, s20, v4
	v_addc_co_u32_e32 v5, vcc, v1, v5, vcc
	global_load_dwordx2 v[4:5], v[4:5], off
	v_mov_b32_e32 v9, 1
	s_waitcnt vmcnt(0)
	v_cmp_neq_f64_e32 vcc, s[28:29], v[4:5]
	s_and_saveexec_b64 s[42:43], vcc
	s_cbranch_execz .LBB15_7
; %bb.15:                               ;   in Loop: Header=BB15_10 Depth=1
	v_cmp_o_f64_e32 vcc, v[4:5], v[4:5]
	v_mov_b32_e32 v9, 2
	s_and_saveexec_b64 s[46:47], vcc
	s_cbranch_execz .LBB15_6
; %bb.16:                               ;   in Loop: Header=BB15_10 Depth=1
	s_and_b64 vcc, exec, s[24:25]
	s_cbranch_vccz .LBB15_19
; %bb.17:                               ;   in Loop: Header=BB15_10 Depth=1
	s_and_b64 vcc, exec, s[26:27]
	s_cbranch_vccz .LBB15_20
; %bb.18:                               ;   in Loop: Header=BB15_10 Depth=1
	v_cmp_le_i32_e32 vcc, s33, v11
	s_mov_b32 s9, 7
	s_and_b64 s[2:3], vcc, exec
	s_cbranch_execz .LBB15_21
	s_branch .LBB15_22
.LBB15_19:                              ;   in Loop: Header=BB15_10 Depth=1
	s_mov_b32 s9, 2
	s_branch .LBB15_22
.LBB15_20:                              ;   in Loop: Header=BB15_10 Depth=1
	s_mov_b64 s[2:3], 0
	s_mov_b32 s9, 2
.LBB15_21:                              ;   in Loop: Header=BB15_10 Depth=1
	v_cmp_ge_i32_e32 vcc, s33, v11
	s_andn2_b64 s[2:3], s[2:3], exec
	s_and_b64 s[48:49], vcc, exec
	s_mov_b32 s9, 7
	s_or_b64 s[2:3], s[2:3], s[48:49]
.LBB15_22:                              ;   in Loop: Header=BB15_10 Depth=1
	v_mov_b32_e32 v9, s9
	s_mov_b64 s[50:51], -1
	s_and_saveexec_b64 s[48:49], s[2:3]
	s_cbranch_execz .LBB15_5
; %bb.23:                               ;   in Loop: Header=BB15_10 Depth=1
	s_nor_b64 s[2:3], s[14:15], s[44:45]
	s_mov_b64 s[44:45], -1
	v_mov_b32_e32 v9, s9
	s_and_saveexec_b64 s[50:51], s[2:3]
	s_cbranch_execz .LBB15_25
; %bb.24:                               ;   in Loop: Header=BB15_10 Depth=1
	global_load_dword v1, v[2:3], off offset:-4
	v_mov_b32_e32 v9, 6
	s_waitcnt vmcnt(0)
	v_subrev_u32_e32 v2, s12, v1
	v_cmp_lt_i32_e64 s[0:1], -1, v2
	v_cmp_gt_i32_e64 s[2:3], s17, v2
	s_and_b64 s[0:1], s[0:1], s[2:3]
	v_cmp_gt_i32_e32 vcc, v10, v1
	s_xor_b64 s[0:1], s[0:1], -1
	s_or_b64 s[0:1], vcc, s[0:1]
	s_orn2_b64 s[0:1], s[0:1], exec
.LBB15_25:                              ;   in Loop: Header=BB15_10 Depth=1
	s_or_b64 exec, exec, s[50:51]
	s_mov_b64 s[2:3], -1
	s_and_saveexec_b64 s[50:51], s[0:1]
	s_cbranch_execz .LBB15_4
; %bb.26:                               ;   in Loop: Header=BB15_10 Depth=1
	v_add_u32_e32 v0, 0x100, v0
	v_cmp_ge_i32_e32 vcc, v0, v7
	s_xor_b64 s[2:3], exec, -1
	s_orn2_b64 s[44:45], vcc, exec
	s_branch .LBB15_4
.LBB15_27:
	s_or_b64 exec, exec, s[22:23]
	s_and_b64 s[0:1], s[30:31], exec
.LBB15_28:
	s_or_b64 exec, exec, s[18:19]
	s_orn2_b64 s[8:9], s[0:1], exec
.LBB15_29:
	s_or_b64 exec, exec, s[6:7]
	s_and_b64 exec, exec, s[8:9]
	s_cbranch_execz .LBB15_31
; %bb.30:
	s_load_dwordx2 s[0:1], s[4:5], 0x40
	v_mov_b32_e32 v0, 0
	s_waitcnt lgkmcnt(0)
	global_store_dword v0, v9, s[0:1]
.LBB15_31:
	s_endpgm
	.section	.rodata,"a",@progbits
	.p2align	6, 0x0
	.amdhsa_kernel _ZN9rocsparseL23check_matrix_csr_deviceILj256ELj256EdiiEEvT3_S1_T2_PKT1_PKS2_PKS1_S9_21rocsparse_index_base_22rocsparse_matrix_type_20rocsparse_fill_mode_23rocsparse_storage_mode_P22rocsparse_data_status_
		.amdhsa_group_segment_fixed_size 0
		.amdhsa_private_segment_fixed_size 0
		.amdhsa_kernarg_size 72
		.amdhsa_user_sgpr_count 6
		.amdhsa_user_sgpr_private_segment_buffer 1
		.amdhsa_user_sgpr_dispatch_ptr 0
		.amdhsa_user_sgpr_queue_ptr 0
		.amdhsa_user_sgpr_kernarg_segment_ptr 1
		.amdhsa_user_sgpr_dispatch_id 0
		.amdhsa_user_sgpr_flat_scratch_init 0
		.amdhsa_user_sgpr_private_segment_size 0
		.amdhsa_uses_dynamic_stack 0
		.amdhsa_system_sgpr_private_segment_wavefront_offset 0
		.amdhsa_system_sgpr_workgroup_id_x 1
		.amdhsa_system_sgpr_workgroup_id_y 0
		.amdhsa_system_sgpr_workgroup_id_z 0
		.amdhsa_system_sgpr_workgroup_info 0
		.amdhsa_system_vgpr_workitem_id 0
		.amdhsa_next_free_vgpr 13
		.amdhsa_next_free_sgpr 52
		.amdhsa_reserve_vcc 1
		.amdhsa_reserve_flat_scratch 0
		.amdhsa_float_round_mode_32 0
		.amdhsa_float_round_mode_16_64 0
		.amdhsa_float_denorm_mode_32 3
		.amdhsa_float_denorm_mode_16_64 3
		.amdhsa_dx10_clamp 1
		.amdhsa_ieee_mode 1
		.amdhsa_fp16_overflow 0
		.amdhsa_exception_fp_ieee_invalid_op 0
		.amdhsa_exception_fp_denorm_src 0
		.amdhsa_exception_fp_ieee_div_zero 0
		.amdhsa_exception_fp_ieee_overflow 0
		.amdhsa_exception_fp_ieee_underflow 0
		.amdhsa_exception_fp_ieee_inexact 0
		.amdhsa_exception_int_div_zero 0
	.end_amdhsa_kernel
	.section	.text._ZN9rocsparseL23check_matrix_csr_deviceILj256ELj256EdiiEEvT3_S1_T2_PKT1_PKS2_PKS1_S9_21rocsparse_index_base_22rocsparse_matrix_type_20rocsparse_fill_mode_23rocsparse_storage_mode_P22rocsparse_data_status_,"axG",@progbits,_ZN9rocsparseL23check_matrix_csr_deviceILj256ELj256EdiiEEvT3_S1_T2_PKT1_PKS2_PKS1_S9_21rocsparse_index_base_22rocsparse_matrix_type_20rocsparse_fill_mode_23rocsparse_storage_mode_P22rocsparse_data_status_,comdat
.Lfunc_end15:
	.size	_ZN9rocsparseL23check_matrix_csr_deviceILj256ELj256EdiiEEvT3_S1_T2_PKT1_PKS2_PKS1_S9_21rocsparse_index_base_22rocsparse_matrix_type_20rocsparse_fill_mode_23rocsparse_storage_mode_P22rocsparse_data_status_, .Lfunc_end15-_ZN9rocsparseL23check_matrix_csr_deviceILj256ELj256EdiiEEvT3_S1_T2_PKT1_PKS2_PKS1_S9_21rocsparse_index_base_22rocsparse_matrix_type_20rocsparse_fill_mode_23rocsparse_storage_mode_P22rocsparse_data_status_
                                        ; -- End function
	.set _ZN9rocsparseL23check_matrix_csr_deviceILj256ELj256EdiiEEvT3_S1_T2_PKT1_PKS2_PKS1_S9_21rocsparse_index_base_22rocsparse_matrix_type_20rocsparse_fill_mode_23rocsparse_storage_mode_P22rocsparse_data_status_.num_vgpr, 13
	.set _ZN9rocsparseL23check_matrix_csr_deviceILj256ELj256EdiiEEvT3_S1_T2_PKT1_PKS2_PKS1_S9_21rocsparse_index_base_22rocsparse_matrix_type_20rocsparse_fill_mode_23rocsparse_storage_mode_P22rocsparse_data_status_.num_agpr, 0
	.set _ZN9rocsparseL23check_matrix_csr_deviceILj256ELj256EdiiEEvT3_S1_T2_PKT1_PKS2_PKS1_S9_21rocsparse_index_base_22rocsparse_matrix_type_20rocsparse_fill_mode_23rocsparse_storage_mode_P22rocsparse_data_status_.numbered_sgpr, 52
	.set _ZN9rocsparseL23check_matrix_csr_deviceILj256ELj256EdiiEEvT3_S1_T2_PKT1_PKS2_PKS1_S9_21rocsparse_index_base_22rocsparse_matrix_type_20rocsparse_fill_mode_23rocsparse_storage_mode_P22rocsparse_data_status_.num_named_barrier, 0
	.set _ZN9rocsparseL23check_matrix_csr_deviceILj256ELj256EdiiEEvT3_S1_T2_PKT1_PKS2_PKS1_S9_21rocsparse_index_base_22rocsparse_matrix_type_20rocsparse_fill_mode_23rocsparse_storage_mode_P22rocsparse_data_status_.private_seg_size, 0
	.set _ZN9rocsparseL23check_matrix_csr_deviceILj256ELj256EdiiEEvT3_S1_T2_PKT1_PKS2_PKS1_S9_21rocsparse_index_base_22rocsparse_matrix_type_20rocsparse_fill_mode_23rocsparse_storage_mode_P22rocsparse_data_status_.uses_vcc, 1
	.set _ZN9rocsparseL23check_matrix_csr_deviceILj256ELj256EdiiEEvT3_S1_T2_PKT1_PKS2_PKS1_S9_21rocsparse_index_base_22rocsparse_matrix_type_20rocsparse_fill_mode_23rocsparse_storage_mode_P22rocsparse_data_status_.uses_flat_scratch, 0
	.set _ZN9rocsparseL23check_matrix_csr_deviceILj256ELj256EdiiEEvT3_S1_T2_PKT1_PKS2_PKS1_S9_21rocsparse_index_base_22rocsparse_matrix_type_20rocsparse_fill_mode_23rocsparse_storage_mode_P22rocsparse_data_status_.has_dyn_sized_stack, 0
	.set _ZN9rocsparseL23check_matrix_csr_deviceILj256ELj256EdiiEEvT3_S1_T2_PKT1_PKS2_PKS1_S9_21rocsparse_index_base_22rocsparse_matrix_type_20rocsparse_fill_mode_23rocsparse_storage_mode_P22rocsparse_data_status_.has_recursion, 0
	.set _ZN9rocsparseL23check_matrix_csr_deviceILj256ELj256EdiiEEvT3_S1_T2_PKT1_PKS2_PKS1_S9_21rocsparse_index_base_22rocsparse_matrix_type_20rocsparse_fill_mode_23rocsparse_storage_mode_P22rocsparse_data_status_.has_indirect_call, 0
	.section	.AMDGPU.csdata,"",@progbits
; Kernel info:
; codeLenInByte = 852
; TotalNumSgprs: 56
; NumVgprs: 13
; ScratchSize: 0
; MemoryBound: 0
; FloatMode: 240
; IeeeMode: 1
; LDSByteSize: 0 bytes/workgroup (compile time only)
; SGPRBlocks: 6
; VGPRBlocks: 3
; NumSGPRsForWavesPerEU: 56
; NumVGPRsForWavesPerEU: 13
; Occupancy: 10
; WaveLimiterHint : 0
; COMPUTE_PGM_RSRC2:SCRATCH_EN: 0
; COMPUTE_PGM_RSRC2:USER_SGPR: 6
; COMPUTE_PGM_RSRC2:TRAP_HANDLER: 0
; COMPUTE_PGM_RSRC2:TGID_X_EN: 1
; COMPUTE_PGM_RSRC2:TGID_Y_EN: 0
; COMPUTE_PGM_RSRC2:TGID_Z_EN: 0
; COMPUTE_PGM_RSRC2:TIDIG_COMP_CNT: 0
	.section	.text._ZN9rocsparseL23check_matrix_csr_deviceILj256ELj4E21rocsparse_complex_numIfEiiEEvT3_S3_T2_PKT1_PKS4_PKS3_SB_21rocsparse_index_base_22rocsparse_matrix_type_20rocsparse_fill_mode_23rocsparse_storage_mode_P22rocsparse_data_status_,"axG",@progbits,_ZN9rocsparseL23check_matrix_csr_deviceILj256ELj4E21rocsparse_complex_numIfEiiEEvT3_S3_T2_PKT1_PKS4_PKS3_SB_21rocsparse_index_base_22rocsparse_matrix_type_20rocsparse_fill_mode_23rocsparse_storage_mode_P22rocsparse_data_status_,comdat
	.globl	_ZN9rocsparseL23check_matrix_csr_deviceILj256ELj4E21rocsparse_complex_numIfEiiEEvT3_S3_T2_PKT1_PKS4_PKS3_SB_21rocsparse_index_base_22rocsparse_matrix_type_20rocsparse_fill_mode_23rocsparse_storage_mode_P22rocsparse_data_status_ ; -- Begin function _ZN9rocsparseL23check_matrix_csr_deviceILj256ELj4E21rocsparse_complex_numIfEiiEEvT3_S3_T2_PKT1_PKS4_PKS3_SB_21rocsparse_index_base_22rocsparse_matrix_type_20rocsparse_fill_mode_23rocsparse_storage_mode_P22rocsparse_data_status_
	.p2align	8
	.type	_ZN9rocsparseL23check_matrix_csr_deviceILj256ELj4E21rocsparse_complex_numIfEiiEEvT3_S3_T2_PKT1_PKS4_PKS3_SB_21rocsparse_index_base_22rocsparse_matrix_type_20rocsparse_fill_mode_23rocsparse_storage_mode_P22rocsparse_data_status_,@function
_ZN9rocsparseL23check_matrix_csr_deviceILj256ELj4E21rocsparse_complex_numIfEiiEEvT3_S3_T2_PKT1_PKS4_PKS3_SB_21rocsparse_index_base_22rocsparse_matrix_type_20rocsparse_fill_mode_23rocsparse_storage_mode_P22rocsparse_data_status_: ; @_ZN9rocsparseL23check_matrix_csr_deviceILj256ELj4E21rocsparse_complex_numIfEiiEEvT3_S3_T2_PKT1_PKS4_PKS3_SB_21rocsparse_index_base_22rocsparse_matrix_type_20rocsparse_fill_mode_23rocsparse_storage_mode_P22rocsparse_data_status_
; %bb.0:
	s_load_dwordx2 s[16:17], s[4:5], 0x0
	v_lshl_or_b32 v1, s6, 8, v0
	v_lshrrev_b32_e32 v6, 2, v1
	s_waitcnt lgkmcnt(0)
	v_cmp_gt_i32_e32 vcc, s16, v6
	s_and_saveexec_b64 s[0:1], vcc
	s_cbranch_execz .LBB16_31
; %bb.1:
	s_load_dwordx2 s[0:1], s[4:5], 0x18
	v_lshlrev_b32_e32 v1, 2, v6
	s_mov_b64 s[8:9], -1
	v_mov_b32_e32 v10, 3
	s_waitcnt lgkmcnt(0)
	global_load_dwordx2 v[1:2], v1, s[0:1]
	s_load_dword s0, s[0:1], 0x0
	s_waitcnt vmcnt(0) lgkmcnt(0)
	v_subrev_u32_e32 v8, s0, v2
	v_cmp_lt_i32_e32 vcc, v2, v1
	v_cmp_gt_i32_e64 s[2:3], 0, v8
	v_subrev_u32_e32 v7, s0, v1
	s_or_b64 s[2:3], s[2:3], vcc
	v_cmp_lt_i32_e64 s[0:1], -1, v7
	s_xor_b64 s[2:3], s[2:3], -1
	s_and_b64 s[0:1], s[0:1], s[2:3]
	s_and_saveexec_b64 s[6:7], s[0:1]
	s_cbranch_execz .LBB16_29
; %bb.2:
	v_and_b32_e32 v0, 3, v0
	v_add_u32_e32 v0, v7, v0
	v_mov_b32_e32 v10, 3
	v_cmp_lt_u32_e32 vcc, v0, v8
	s_mov_b64 s[0:1], 0
	s_and_saveexec_b64 s[18:19], vcc
	s_cbranch_execz .LBB16_28
; %bb.3:
	s_load_dwordx8 s[8:15], s[4:5], 0x20
	s_load_dwordx2 s[20:21], s[4:5], 0x10
	s_mov_b64 s[22:23], 0
                                        ; implicit-def: $sgpr28_sgpr29
                                        ; implicit-def: $sgpr30_sgpr31
                                        ; implicit-def: $sgpr34_sgpr35
	s_waitcnt lgkmcnt(0)
	s_cmp_lg_u32 s13, 0
	s_cselect_b64 s[24:25], -1, 0
	s_cmp_lg_u32 s14, 0
	s_cselect_b64 s[26:27], -1, 0
	;; [unrolled: 2-line block ×3, first 2 shown]
	v_mov_b32_e32 v9, s9
	s_mov_b32 s9, 0x7f800000
	s_branch .LBB16_10
.LBB16_4:                               ;   in Loop: Header=BB16_10 Depth=1
	s_or_b64 exec, exec, s[48:49]
	s_orn2_b64 s[48:49], s[2:3], exec
	s_orn2_b64 s[0:1], s[42:43], exec
.LBB16_5:                               ;   in Loop: Header=BB16_10 Depth=1
	s_or_b64 exec, exec, s[46:47]
	s_orn2_b64 s[2:3], s[48:49], exec
	s_orn2_b64 s[0:1], s[0:1], exec
.LBB16_6:                               ;   in Loop: Header=BB16_10 Depth=1
	s_or_b64 exec, exec, s[44:45]
	s_orn2_b64 s[44:45], s[2:3], exec
	s_orn2_b64 s[2:3], s[0:1], exec
.LBB16_7:                               ;   in Loop: Header=BB16_10 Depth=1
	s_or_b64 exec, exec, s[40:41]
	s_orn2_b64 s[40:41], s[44:45], exec
	s_orn2_b64 s[0:1], s[2:3], exec
.LBB16_8:                               ;   in Loop: Header=BB16_10 Depth=1
	s_or_b64 exec, exec, s[38:39]
	s_andn2_b64 s[2:3], s[34:35], exec
	s_and_b64 s[34:35], s[40:41], exec
	s_or_b64 s[34:35], s[2:3], s[34:35]
	s_andn2_b64 s[2:3], s[30:31], exec
	s_and_b64 s[0:1], s[0:1], exec
	s_or_b64 s[30:31], s[2:3], s[0:1]
.LBB16_9:                               ;   in Loop: Header=BB16_10 Depth=1
	s_or_b64 exec, exec, s[36:37]
	s_and_b64 s[0:1], exec, s[30:31]
	s_or_b64 s[22:23], s[0:1], s[22:23]
	s_andn2_b64 s[0:1], s[28:29], exec
	s_and_b64 s[2:3], s[34:35], exec
	s_or_b64 s[28:29], s[0:1], s[2:3]
	s_andn2_b64 exec, exec, s[22:23]
	s_cbranch_execz .LBB16_27
.LBB16_10:                              ; =>This Inner Loop Header: Depth=1
	v_ashrrev_i32_e32 v1, 31, v0
	v_lshlrev_b64 v[4:5], 2, v[0:1]
	v_mov_b32_e32 v10, 4
	v_add_co_u32_e32 v2, vcc, s8, v4
	v_addc_co_u32_e32 v3, vcc, v9, v5, vcc
	global_load_dword v11, v[2:3], off
	s_or_b64 s[34:35], s[34:35], exec
	s_or_b64 s[30:31], s[30:31], exec
	s_waitcnt vmcnt(0)
	v_subrev_u32_e32 v12, s12, v11
	v_cmp_lt_i32_e32 vcc, -1, v12
	v_cmp_gt_i32_e64 s[0:1], s17, v12
	s_and_b64 s[0:1], vcc, s[0:1]
	s_and_saveexec_b64 s[36:37], s[0:1]
	s_cbranch_execz .LBB16_9
; %bb.11:                               ;   in Loop: Header=BB16_10 Depth=1
	v_cmp_le_i32_e64 s[42:43], v0, v7
	v_cmp_gt_i32_e32 vcc, v0, v7
	v_mov_b32_e32 v10, 4
	s_mov_b64 s[2:3], s[42:43]
	s_and_saveexec_b64 s[38:39], vcc
	s_cbranch_execz .LBB16_13
; %bb.12:                               ;   in Loop: Header=BB16_10 Depth=1
	v_mov_b32_e32 v10, s11
	v_add_co_u32_e32 v4, vcc, s10, v4
	v_addc_co_u32_e32 v5, vcc, v10, v5, vcc
	global_load_dwordx2 v[4:5], v[4:5], off offset:-4
	v_mov_b32_e32 v10, 5
	s_waitcnt vmcnt(0)
	v_subrev_u32_e32 v13, s12, v4
	v_cmp_lt_i32_e64 s[0:1], -1, v13
	v_cmp_gt_i32_e64 s[2:3], s17, v13
	s_and_b64 s[0:1], s[0:1], s[2:3]
	v_cmp_ne_u32_e32 vcc, v5, v4
	s_xor_b64 s[0:1], s[0:1], -1
	s_or_b64 s[0:1], vcc, s[0:1]
	s_andn2_b64 s[2:3], s[42:43], exec
	s_and_b64 s[0:1], s[0:1], exec
	s_or_b64 s[2:3], s[2:3], s[0:1]
.LBB16_13:                              ;   in Loop: Header=BB16_10 Depth=1
	s_or_b64 exec, exec, s[38:39]
	s_mov_b64 s[0:1], -1
	s_mov_b64 s[40:41], -1
	s_and_saveexec_b64 s[38:39], s[2:3]
	s_cbranch_execz .LBB16_8
; %bb.14:                               ;   in Loop: Header=BB16_10 Depth=1
	v_lshlrev_b64 v[4:5], 3, v[0:1]
	v_mov_b32_e32 v1, s21
	v_add_co_u32_e32 v4, vcc, s20, v4
	v_addc_co_u32_e32 v5, vcc, v1, v5, vcc
	global_load_dwordx2 v[4:5], v[4:5], off
	v_mov_b32_e32 v10, 1
	s_mov_b64 s[2:3], -1
	s_mov_b64 s[44:45], -1
	s_waitcnt vmcnt(0)
	v_cmp_neq_f32_e32 vcc, s9, v4
	v_cmp_neq_f32_e64 s[0:1], s9, v5
	s_and_b64 s[0:1], vcc, s[0:1]
	s_and_saveexec_b64 s[40:41], s[0:1]
	s_cbranch_execz .LBB16_7
; %bb.15:                               ;   in Loop: Header=BB16_10 Depth=1
	v_cmp_o_f32_e32 vcc, v4, v5
	v_mov_b32_e32 v10, 2
	s_mov_b64 s[0:1], -1
	s_and_saveexec_b64 s[44:45], vcc
	s_cbranch_execz .LBB16_6
; %bb.16:                               ;   in Loop: Header=BB16_10 Depth=1
	s_and_b64 vcc, exec, s[24:25]
	s_cbranch_vccz .LBB16_19
; %bb.17:                               ;   in Loop: Header=BB16_10 Depth=1
	s_and_b64 vcc, exec, s[26:27]
	s_cbranch_vccz .LBB16_20
; %bb.18:                               ;   in Loop: Header=BB16_10 Depth=1
	v_cmp_le_i32_e32 vcc, v6, v12
	s_mov_b32 s13, 7
	s_and_b64 s[2:3], vcc, exec
	s_cbranch_execz .LBB16_21
	s_branch .LBB16_22
.LBB16_19:                              ;   in Loop: Header=BB16_10 Depth=1
	s_mov_b32 s13, 2
	s_branch .LBB16_22
.LBB16_20:                              ;   in Loop: Header=BB16_10 Depth=1
	s_mov_b64 s[2:3], 0
	s_mov_b32 s13, 2
.LBB16_21:                              ;   in Loop: Header=BB16_10 Depth=1
	v_cmp_ge_i32_e32 vcc, v6, v12
	s_andn2_b64 s[2:3], s[2:3], exec
	s_and_b64 s[46:47], vcc, exec
	s_mov_b32 s13, 7
	s_or_b64 s[2:3], s[2:3], s[46:47]
.LBB16_22:                              ;   in Loop: Header=BB16_10 Depth=1
	v_mov_b32_e32 v10, s13
	s_mov_b64 s[48:49], -1
	s_and_saveexec_b64 s[46:47], s[2:3]
	s_cbranch_execz .LBB16_5
; %bb.23:                               ;   in Loop: Header=BB16_10 Depth=1
	s_nor_b64 s[2:3], s[14:15], s[42:43]
	s_mov_b64 s[42:43], -1
	v_mov_b32_e32 v10, s13
	s_and_saveexec_b64 s[48:49], s[2:3]
	s_cbranch_execz .LBB16_25
; %bb.24:                               ;   in Loop: Header=BB16_10 Depth=1
	global_load_dword v1, v[2:3], off offset:-4
	v_mov_b32_e32 v10, 6
	s_waitcnt vmcnt(0)
	v_subrev_u32_e32 v2, s12, v1
	v_cmp_lt_i32_e64 s[0:1], -1, v2
	v_cmp_gt_i32_e64 s[2:3], s17, v2
	s_and_b64 s[0:1], s[0:1], s[2:3]
	v_cmp_gt_i32_e32 vcc, v11, v1
	s_xor_b64 s[0:1], s[0:1], -1
	s_or_b64 s[0:1], vcc, s[0:1]
	s_orn2_b64 s[0:1], s[0:1], exec
.LBB16_25:                              ;   in Loop: Header=BB16_10 Depth=1
	s_or_b64 exec, exec, s[48:49]
	s_mov_b64 s[2:3], -1
	s_and_saveexec_b64 s[48:49], s[0:1]
	s_cbranch_execz .LBB16_4
; %bb.26:                               ;   in Loop: Header=BB16_10 Depth=1
	v_add_u32_e32 v0, 4, v0
	v_cmp_ge_i32_e32 vcc, v0, v8
	s_xor_b64 s[2:3], exec, -1
	s_orn2_b64 s[42:43], vcc, exec
	s_branch .LBB16_4
.LBB16_27:
	s_or_b64 exec, exec, s[22:23]
	s_and_b64 s[0:1], s[28:29], exec
.LBB16_28:
	s_or_b64 exec, exec, s[18:19]
	s_orn2_b64 s[8:9], s[0:1], exec
.LBB16_29:
	s_or_b64 exec, exec, s[6:7]
	s_and_b64 exec, exec, s[8:9]
	s_cbranch_execz .LBB16_31
; %bb.30:
	s_load_dwordx2 s[0:1], s[4:5], 0x40
	v_mov_b32_e32 v0, 0
	s_waitcnt lgkmcnt(0)
	global_store_dword v0, v10, s[0:1]
.LBB16_31:
	s_endpgm
	.section	.rodata,"a",@progbits
	.p2align	6, 0x0
	.amdhsa_kernel _ZN9rocsparseL23check_matrix_csr_deviceILj256ELj4E21rocsparse_complex_numIfEiiEEvT3_S3_T2_PKT1_PKS4_PKS3_SB_21rocsparse_index_base_22rocsparse_matrix_type_20rocsparse_fill_mode_23rocsparse_storage_mode_P22rocsparse_data_status_
		.amdhsa_group_segment_fixed_size 0
		.amdhsa_private_segment_fixed_size 0
		.amdhsa_kernarg_size 72
		.amdhsa_user_sgpr_count 6
		.amdhsa_user_sgpr_private_segment_buffer 1
		.amdhsa_user_sgpr_dispatch_ptr 0
		.amdhsa_user_sgpr_queue_ptr 0
		.amdhsa_user_sgpr_kernarg_segment_ptr 1
		.amdhsa_user_sgpr_dispatch_id 0
		.amdhsa_user_sgpr_flat_scratch_init 0
		.amdhsa_user_sgpr_private_segment_size 0
		.amdhsa_uses_dynamic_stack 0
		.amdhsa_system_sgpr_private_segment_wavefront_offset 0
		.amdhsa_system_sgpr_workgroup_id_x 1
		.amdhsa_system_sgpr_workgroup_id_y 0
		.amdhsa_system_sgpr_workgroup_id_z 0
		.amdhsa_system_sgpr_workgroup_info 0
		.amdhsa_system_vgpr_workitem_id 0
		.amdhsa_next_free_vgpr 14
		.amdhsa_next_free_sgpr 50
		.amdhsa_reserve_vcc 1
		.amdhsa_reserve_flat_scratch 0
		.amdhsa_float_round_mode_32 0
		.amdhsa_float_round_mode_16_64 0
		.amdhsa_float_denorm_mode_32 3
		.amdhsa_float_denorm_mode_16_64 3
		.amdhsa_dx10_clamp 1
		.amdhsa_ieee_mode 1
		.amdhsa_fp16_overflow 0
		.amdhsa_exception_fp_ieee_invalid_op 0
		.amdhsa_exception_fp_denorm_src 0
		.amdhsa_exception_fp_ieee_div_zero 0
		.amdhsa_exception_fp_ieee_overflow 0
		.amdhsa_exception_fp_ieee_underflow 0
		.amdhsa_exception_fp_ieee_inexact 0
		.amdhsa_exception_int_div_zero 0
	.end_amdhsa_kernel
	.section	.text._ZN9rocsparseL23check_matrix_csr_deviceILj256ELj4E21rocsparse_complex_numIfEiiEEvT3_S3_T2_PKT1_PKS4_PKS3_SB_21rocsparse_index_base_22rocsparse_matrix_type_20rocsparse_fill_mode_23rocsparse_storage_mode_P22rocsparse_data_status_,"axG",@progbits,_ZN9rocsparseL23check_matrix_csr_deviceILj256ELj4E21rocsparse_complex_numIfEiiEEvT3_S3_T2_PKT1_PKS4_PKS3_SB_21rocsparse_index_base_22rocsparse_matrix_type_20rocsparse_fill_mode_23rocsparse_storage_mode_P22rocsparse_data_status_,comdat
.Lfunc_end16:
	.size	_ZN9rocsparseL23check_matrix_csr_deviceILj256ELj4E21rocsparse_complex_numIfEiiEEvT3_S3_T2_PKT1_PKS4_PKS3_SB_21rocsparse_index_base_22rocsparse_matrix_type_20rocsparse_fill_mode_23rocsparse_storage_mode_P22rocsparse_data_status_, .Lfunc_end16-_ZN9rocsparseL23check_matrix_csr_deviceILj256ELj4E21rocsparse_complex_numIfEiiEEvT3_S3_T2_PKT1_PKS4_PKS3_SB_21rocsparse_index_base_22rocsparse_matrix_type_20rocsparse_fill_mode_23rocsparse_storage_mode_P22rocsparse_data_status_
                                        ; -- End function
	.set _ZN9rocsparseL23check_matrix_csr_deviceILj256ELj4E21rocsparse_complex_numIfEiiEEvT3_S3_T2_PKT1_PKS4_PKS3_SB_21rocsparse_index_base_22rocsparse_matrix_type_20rocsparse_fill_mode_23rocsparse_storage_mode_P22rocsparse_data_status_.num_vgpr, 14
	.set _ZN9rocsparseL23check_matrix_csr_deviceILj256ELj4E21rocsparse_complex_numIfEiiEEvT3_S3_T2_PKT1_PKS4_PKS3_SB_21rocsparse_index_base_22rocsparse_matrix_type_20rocsparse_fill_mode_23rocsparse_storage_mode_P22rocsparse_data_status_.num_agpr, 0
	.set _ZN9rocsparseL23check_matrix_csr_deviceILj256ELj4E21rocsparse_complex_numIfEiiEEvT3_S3_T2_PKT1_PKS4_PKS3_SB_21rocsparse_index_base_22rocsparse_matrix_type_20rocsparse_fill_mode_23rocsparse_storage_mode_P22rocsparse_data_status_.numbered_sgpr, 50
	.set _ZN9rocsparseL23check_matrix_csr_deviceILj256ELj4E21rocsparse_complex_numIfEiiEEvT3_S3_T2_PKT1_PKS4_PKS3_SB_21rocsparse_index_base_22rocsparse_matrix_type_20rocsparse_fill_mode_23rocsparse_storage_mode_P22rocsparse_data_status_.num_named_barrier, 0
	.set _ZN9rocsparseL23check_matrix_csr_deviceILj256ELj4E21rocsparse_complex_numIfEiiEEvT3_S3_T2_PKT1_PKS4_PKS3_SB_21rocsparse_index_base_22rocsparse_matrix_type_20rocsparse_fill_mode_23rocsparse_storage_mode_P22rocsparse_data_status_.private_seg_size, 0
	.set _ZN9rocsparseL23check_matrix_csr_deviceILj256ELj4E21rocsparse_complex_numIfEiiEEvT3_S3_T2_PKT1_PKS4_PKS3_SB_21rocsparse_index_base_22rocsparse_matrix_type_20rocsparse_fill_mode_23rocsparse_storage_mode_P22rocsparse_data_status_.uses_vcc, 1
	.set _ZN9rocsparseL23check_matrix_csr_deviceILj256ELj4E21rocsparse_complex_numIfEiiEEvT3_S3_T2_PKT1_PKS4_PKS3_SB_21rocsparse_index_base_22rocsparse_matrix_type_20rocsparse_fill_mode_23rocsparse_storage_mode_P22rocsparse_data_status_.uses_flat_scratch, 0
	.set _ZN9rocsparseL23check_matrix_csr_deviceILj256ELj4E21rocsparse_complex_numIfEiiEEvT3_S3_T2_PKT1_PKS4_PKS3_SB_21rocsparse_index_base_22rocsparse_matrix_type_20rocsparse_fill_mode_23rocsparse_storage_mode_P22rocsparse_data_status_.has_dyn_sized_stack, 0
	.set _ZN9rocsparseL23check_matrix_csr_deviceILj256ELj4E21rocsparse_complex_numIfEiiEEvT3_S3_T2_PKT1_PKS4_PKS3_SB_21rocsparse_index_base_22rocsparse_matrix_type_20rocsparse_fill_mode_23rocsparse_storage_mode_P22rocsparse_data_status_.has_recursion, 0
	.set _ZN9rocsparseL23check_matrix_csr_deviceILj256ELj4E21rocsparse_complex_numIfEiiEEvT3_S3_T2_PKT1_PKS4_PKS3_SB_21rocsparse_index_base_22rocsparse_matrix_type_20rocsparse_fill_mode_23rocsparse_storage_mode_P22rocsparse_data_status_.has_indirect_call, 0
	.section	.AMDGPU.csdata,"",@progbits
; Kernel info:
; codeLenInByte = 868
; TotalNumSgprs: 54
; NumVgprs: 14
; ScratchSize: 0
; MemoryBound: 0
; FloatMode: 240
; IeeeMode: 1
; LDSByteSize: 0 bytes/workgroup (compile time only)
; SGPRBlocks: 6
; VGPRBlocks: 3
; NumSGPRsForWavesPerEU: 54
; NumVGPRsForWavesPerEU: 14
; Occupancy: 10
; WaveLimiterHint : 0
; COMPUTE_PGM_RSRC2:SCRATCH_EN: 0
; COMPUTE_PGM_RSRC2:USER_SGPR: 6
; COMPUTE_PGM_RSRC2:TRAP_HANDLER: 0
; COMPUTE_PGM_RSRC2:TGID_X_EN: 1
; COMPUTE_PGM_RSRC2:TGID_Y_EN: 0
; COMPUTE_PGM_RSRC2:TGID_Z_EN: 0
; COMPUTE_PGM_RSRC2:TIDIG_COMP_CNT: 0
	.section	.text._ZN9rocsparseL23check_matrix_csr_deviceILj256ELj8E21rocsparse_complex_numIfEiiEEvT3_S3_T2_PKT1_PKS4_PKS3_SB_21rocsparse_index_base_22rocsparse_matrix_type_20rocsparse_fill_mode_23rocsparse_storage_mode_P22rocsparse_data_status_,"axG",@progbits,_ZN9rocsparseL23check_matrix_csr_deviceILj256ELj8E21rocsparse_complex_numIfEiiEEvT3_S3_T2_PKT1_PKS4_PKS3_SB_21rocsparse_index_base_22rocsparse_matrix_type_20rocsparse_fill_mode_23rocsparse_storage_mode_P22rocsparse_data_status_,comdat
	.globl	_ZN9rocsparseL23check_matrix_csr_deviceILj256ELj8E21rocsparse_complex_numIfEiiEEvT3_S3_T2_PKT1_PKS4_PKS3_SB_21rocsparse_index_base_22rocsparse_matrix_type_20rocsparse_fill_mode_23rocsparse_storage_mode_P22rocsparse_data_status_ ; -- Begin function _ZN9rocsparseL23check_matrix_csr_deviceILj256ELj8E21rocsparse_complex_numIfEiiEEvT3_S3_T2_PKT1_PKS4_PKS3_SB_21rocsparse_index_base_22rocsparse_matrix_type_20rocsparse_fill_mode_23rocsparse_storage_mode_P22rocsparse_data_status_
	.p2align	8
	.type	_ZN9rocsparseL23check_matrix_csr_deviceILj256ELj8E21rocsparse_complex_numIfEiiEEvT3_S3_T2_PKT1_PKS4_PKS3_SB_21rocsparse_index_base_22rocsparse_matrix_type_20rocsparse_fill_mode_23rocsparse_storage_mode_P22rocsparse_data_status_,@function
_ZN9rocsparseL23check_matrix_csr_deviceILj256ELj8E21rocsparse_complex_numIfEiiEEvT3_S3_T2_PKT1_PKS4_PKS3_SB_21rocsparse_index_base_22rocsparse_matrix_type_20rocsparse_fill_mode_23rocsparse_storage_mode_P22rocsparse_data_status_: ; @_ZN9rocsparseL23check_matrix_csr_deviceILj256ELj8E21rocsparse_complex_numIfEiiEEvT3_S3_T2_PKT1_PKS4_PKS3_SB_21rocsparse_index_base_22rocsparse_matrix_type_20rocsparse_fill_mode_23rocsparse_storage_mode_P22rocsparse_data_status_
; %bb.0:
	s_load_dwordx2 s[16:17], s[4:5], 0x0
	v_lshl_or_b32 v1, s6, 8, v0
	v_lshrrev_b32_e32 v6, 3, v1
	s_waitcnt lgkmcnt(0)
	v_cmp_gt_i32_e32 vcc, s16, v6
	s_and_saveexec_b64 s[0:1], vcc
	s_cbranch_execz .LBB17_31
; %bb.1:
	s_load_dwordx2 s[0:1], s[4:5], 0x18
	v_lshlrev_b32_e32 v1, 2, v6
	s_mov_b64 s[8:9], -1
	v_mov_b32_e32 v10, 3
	s_waitcnt lgkmcnt(0)
	global_load_dwordx2 v[1:2], v1, s[0:1]
	s_load_dword s0, s[0:1], 0x0
	s_waitcnt vmcnt(0) lgkmcnt(0)
	v_subrev_u32_e32 v8, s0, v2
	v_cmp_lt_i32_e32 vcc, v2, v1
	v_cmp_gt_i32_e64 s[2:3], 0, v8
	v_subrev_u32_e32 v7, s0, v1
	s_or_b64 s[2:3], s[2:3], vcc
	v_cmp_lt_i32_e64 s[0:1], -1, v7
	s_xor_b64 s[2:3], s[2:3], -1
	s_and_b64 s[0:1], s[0:1], s[2:3]
	s_and_saveexec_b64 s[6:7], s[0:1]
	s_cbranch_execz .LBB17_29
; %bb.2:
	v_and_b32_e32 v0, 7, v0
	v_add_u32_e32 v0, v7, v0
	v_cmp_lt_u32_e32 vcc, v0, v8
	s_mov_b64 s[0:1], 0
	v_mov_b32_e32 v10, 3
	s_and_saveexec_b64 s[18:19], vcc
	s_cbranch_execz .LBB17_28
; %bb.3:
	s_load_dwordx8 s[8:15], s[4:5], 0x20
	s_load_dwordx2 s[20:21], s[4:5], 0x10
	s_mov_b64 s[22:23], 0
                                        ; implicit-def: $sgpr28_sgpr29
                                        ; implicit-def: $sgpr30_sgpr31
                                        ; implicit-def: $sgpr34_sgpr35
	s_waitcnt lgkmcnt(0)
	s_cmp_lg_u32 s13, 0
	s_cselect_b64 s[24:25], -1, 0
	s_cmp_lg_u32 s14, 0
	s_cselect_b64 s[26:27], -1, 0
	;; [unrolled: 2-line block ×3, first 2 shown]
	v_mov_b32_e32 v9, s9
	s_mov_b32 s9, 0x7f800000
	s_branch .LBB17_10
.LBB17_4:                               ;   in Loop: Header=BB17_10 Depth=1
	s_or_b64 exec, exec, s[48:49]
	s_orn2_b64 s[48:49], s[2:3], exec
	s_orn2_b64 s[0:1], s[42:43], exec
.LBB17_5:                               ;   in Loop: Header=BB17_10 Depth=1
	s_or_b64 exec, exec, s[46:47]
	s_orn2_b64 s[2:3], s[48:49], exec
	s_orn2_b64 s[0:1], s[0:1], exec
.LBB17_6:                               ;   in Loop: Header=BB17_10 Depth=1
	s_or_b64 exec, exec, s[44:45]
	s_orn2_b64 s[44:45], s[2:3], exec
	s_orn2_b64 s[2:3], s[0:1], exec
.LBB17_7:                               ;   in Loop: Header=BB17_10 Depth=1
	s_or_b64 exec, exec, s[40:41]
	s_orn2_b64 s[40:41], s[44:45], exec
	s_orn2_b64 s[0:1], s[2:3], exec
.LBB17_8:                               ;   in Loop: Header=BB17_10 Depth=1
	s_or_b64 exec, exec, s[38:39]
	s_andn2_b64 s[2:3], s[34:35], exec
	s_and_b64 s[34:35], s[40:41], exec
	s_or_b64 s[34:35], s[2:3], s[34:35]
	s_andn2_b64 s[2:3], s[30:31], exec
	s_and_b64 s[0:1], s[0:1], exec
	s_or_b64 s[30:31], s[2:3], s[0:1]
.LBB17_9:                               ;   in Loop: Header=BB17_10 Depth=1
	s_or_b64 exec, exec, s[36:37]
	s_and_b64 s[0:1], exec, s[30:31]
	s_or_b64 s[22:23], s[0:1], s[22:23]
	s_andn2_b64 s[0:1], s[28:29], exec
	s_and_b64 s[2:3], s[34:35], exec
	s_or_b64 s[28:29], s[0:1], s[2:3]
	s_andn2_b64 exec, exec, s[22:23]
	s_cbranch_execz .LBB17_27
.LBB17_10:                              ; =>This Inner Loop Header: Depth=1
	v_ashrrev_i32_e32 v1, 31, v0
	v_lshlrev_b64 v[4:5], 2, v[0:1]
	v_mov_b32_e32 v10, 4
	v_add_co_u32_e32 v2, vcc, s8, v4
	v_addc_co_u32_e32 v3, vcc, v9, v5, vcc
	global_load_dword v11, v[2:3], off
	s_or_b64 s[34:35], s[34:35], exec
	s_or_b64 s[30:31], s[30:31], exec
	s_waitcnt vmcnt(0)
	v_subrev_u32_e32 v12, s12, v11
	v_cmp_lt_i32_e32 vcc, -1, v12
	v_cmp_gt_i32_e64 s[0:1], s17, v12
	s_and_b64 s[0:1], vcc, s[0:1]
	s_and_saveexec_b64 s[36:37], s[0:1]
	s_cbranch_execz .LBB17_9
; %bb.11:                               ;   in Loop: Header=BB17_10 Depth=1
	v_cmp_le_i32_e64 s[42:43], v0, v7
	v_cmp_gt_i32_e32 vcc, v0, v7
	v_mov_b32_e32 v10, 4
	s_mov_b64 s[2:3], s[42:43]
	s_and_saveexec_b64 s[38:39], vcc
	s_cbranch_execz .LBB17_13
; %bb.12:                               ;   in Loop: Header=BB17_10 Depth=1
	v_mov_b32_e32 v10, s11
	v_add_co_u32_e32 v4, vcc, s10, v4
	v_addc_co_u32_e32 v5, vcc, v10, v5, vcc
	global_load_dwordx2 v[4:5], v[4:5], off offset:-4
	v_mov_b32_e32 v10, 5
	s_waitcnt vmcnt(0)
	v_subrev_u32_e32 v13, s12, v4
	v_cmp_lt_i32_e64 s[0:1], -1, v13
	v_cmp_gt_i32_e64 s[2:3], s17, v13
	s_and_b64 s[0:1], s[0:1], s[2:3]
	v_cmp_ne_u32_e32 vcc, v5, v4
	s_xor_b64 s[0:1], s[0:1], -1
	s_or_b64 s[0:1], vcc, s[0:1]
	s_andn2_b64 s[2:3], s[42:43], exec
	s_and_b64 s[0:1], s[0:1], exec
	s_or_b64 s[2:3], s[2:3], s[0:1]
.LBB17_13:                              ;   in Loop: Header=BB17_10 Depth=1
	s_or_b64 exec, exec, s[38:39]
	s_mov_b64 s[0:1], -1
	s_mov_b64 s[40:41], -1
	s_and_saveexec_b64 s[38:39], s[2:3]
	s_cbranch_execz .LBB17_8
; %bb.14:                               ;   in Loop: Header=BB17_10 Depth=1
	v_lshlrev_b64 v[4:5], 3, v[0:1]
	v_mov_b32_e32 v1, s21
	v_add_co_u32_e32 v4, vcc, s20, v4
	v_addc_co_u32_e32 v5, vcc, v1, v5, vcc
	global_load_dwordx2 v[4:5], v[4:5], off
	v_mov_b32_e32 v10, 1
	s_mov_b64 s[2:3], -1
	s_mov_b64 s[44:45], -1
	s_waitcnt vmcnt(0)
	v_cmp_neq_f32_e32 vcc, s9, v4
	v_cmp_neq_f32_e64 s[0:1], s9, v5
	s_and_b64 s[0:1], vcc, s[0:1]
	s_and_saveexec_b64 s[40:41], s[0:1]
	s_cbranch_execz .LBB17_7
; %bb.15:                               ;   in Loop: Header=BB17_10 Depth=1
	v_cmp_o_f32_e32 vcc, v4, v5
	v_mov_b32_e32 v10, 2
	s_mov_b64 s[0:1], -1
	s_and_saveexec_b64 s[44:45], vcc
	s_cbranch_execz .LBB17_6
; %bb.16:                               ;   in Loop: Header=BB17_10 Depth=1
	s_and_b64 vcc, exec, s[24:25]
	s_cbranch_vccz .LBB17_19
; %bb.17:                               ;   in Loop: Header=BB17_10 Depth=1
	s_and_b64 vcc, exec, s[26:27]
	s_cbranch_vccz .LBB17_20
; %bb.18:                               ;   in Loop: Header=BB17_10 Depth=1
	v_cmp_le_i32_e32 vcc, v6, v12
	s_mov_b32 s13, 7
	s_and_b64 s[2:3], vcc, exec
	s_cbranch_execz .LBB17_21
	s_branch .LBB17_22
.LBB17_19:                              ;   in Loop: Header=BB17_10 Depth=1
	s_mov_b32 s13, 2
	s_branch .LBB17_22
.LBB17_20:                              ;   in Loop: Header=BB17_10 Depth=1
	s_mov_b64 s[2:3], 0
	s_mov_b32 s13, 2
.LBB17_21:                              ;   in Loop: Header=BB17_10 Depth=1
	v_cmp_ge_i32_e32 vcc, v6, v12
	s_andn2_b64 s[2:3], s[2:3], exec
	s_and_b64 s[46:47], vcc, exec
	s_mov_b32 s13, 7
	s_or_b64 s[2:3], s[2:3], s[46:47]
.LBB17_22:                              ;   in Loop: Header=BB17_10 Depth=1
	v_mov_b32_e32 v10, s13
	s_mov_b64 s[48:49], -1
	s_and_saveexec_b64 s[46:47], s[2:3]
	s_cbranch_execz .LBB17_5
; %bb.23:                               ;   in Loop: Header=BB17_10 Depth=1
	s_nor_b64 s[2:3], s[14:15], s[42:43]
	s_mov_b64 s[42:43], -1
	v_mov_b32_e32 v10, s13
	s_and_saveexec_b64 s[48:49], s[2:3]
	s_cbranch_execz .LBB17_25
; %bb.24:                               ;   in Loop: Header=BB17_10 Depth=1
	global_load_dword v1, v[2:3], off offset:-4
	v_mov_b32_e32 v10, 6
	s_waitcnt vmcnt(0)
	v_subrev_u32_e32 v2, s12, v1
	v_cmp_lt_i32_e64 s[0:1], -1, v2
	v_cmp_gt_i32_e64 s[2:3], s17, v2
	s_and_b64 s[0:1], s[0:1], s[2:3]
	v_cmp_gt_i32_e32 vcc, v11, v1
	s_xor_b64 s[0:1], s[0:1], -1
	s_or_b64 s[0:1], vcc, s[0:1]
	s_orn2_b64 s[0:1], s[0:1], exec
.LBB17_25:                              ;   in Loop: Header=BB17_10 Depth=1
	s_or_b64 exec, exec, s[48:49]
	s_mov_b64 s[2:3], -1
	s_and_saveexec_b64 s[48:49], s[0:1]
	s_cbranch_execz .LBB17_4
; %bb.26:                               ;   in Loop: Header=BB17_10 Depth=1
	v_add_u32_e32 v0, 8, v0
	v_cmp_ge_i32_e32 vcc, v0, v8
	s_xor_b64 s[2:3], exec, -1
	s_orn2_b64 s[42:43], vcc, exec
	s_branch .LBB17_4
.LBB17_27:
	s_or_b64 exec, exec, s[22:23]
	s_and_b64 s[0:1], s[28:29], exec
.LBB17_28:
	s_or_b64 exec, exec, s[18:19]
	s_orn2_b64 s[8:9], s[0:1], exec
.LBB17_29:
	s_or_b64 exec, exec, s[6:7]
	s_and_b64 exec, exec, s[8:9]
	s_cbranch_execz .LBB17_31
; %bb.30:
	s_load_dwordx2 s[0:1], s[4:5], 0x40
	v_mov_b32_e32 v0, 0
	s_waitcnt lgkmcnt(0)
	global_store_dword v0, v10, s[0:1]
.LBB17_31:
	s_endpgm
	.section	.rodata,"a",@progbits
	.p2align	6, 0x0
	.amdhsa_kernel _ZN9rocsparseL23check_matrix_csr_deviceILj256ELj8E21rocsparse_complex_numIfEiiEEvT3_S3_T2_PKT1_PKS4_PKS3_SB_21rocsparse_index_base_22rocsparse_matrix_type_20rocsparse_fill_mode_23rocsparse_storage_mode_P22rocsparse_data_status_
		.amdhsa_group_segment_fixed_size 0
		.amdhsa_private_segment_fixed_size 0
		.amdhsa_kernarg_size 72
		.amdhsa_user_sgpr_count 6
		.amdhsa_user_sgpr_private_segment_buffer 1
		.amdhsa_user_sgpr_dispatch_ptr 0
		.amdhsa_user_sgpr_queue_ptr 0
		.amdhsa_user_sgpr_kernarg_segment_ptr 1
		.amdhsa_user_sgpr_dispatch_id 0
		.amdhsa_user_sgpr_flat_scratch_init 0
		.amdhsa_user_sgpr_private_segment_size 0
		.amdhsa_uses_dynamic_stack 0
		.amdhsa_system_sgpr_private_segment_wavefront_offset 0
		.amdhsa_system_sgpr_workgroup_id_x 1
		.amdhsa_system_sgpr_workgroup_id_y 0
		.amdhsa_system_sgpr_workgroup_id_z 0
		.amdhsa_system_sgpr_workgroup_info 0
		.amdhsa_system_vgpr_workitem_id 0
		.amdhsa_next_free_vgpr 14
		.amdhsa_next_free_sgpr 50
		.amdhsa_reserve_vcc 1
		.amdhsa_reserve_flat_scratch 0
		.amdhsa_float_round_mode_32 0
		.amdhsa_float_round_mode_16_64 0
		.amdhsa_float_denorm_mode_32 3
		.amdhsa_float_denorm_mode_16_64 3
		.amdhsa_dx10_clamp 1
		.amdhsa_ieee_mode 1
		.amdhsa_fp16_overflow 0
		.amdhsa_exception_fp_ieee_invalid_op 0
		.amdhsa_exception_fp_denorm_src 0
		.amdhsa_exception_fp_ieee_div_zero 0
		.amdhsa_exception_fp_ieee_overflow 0
		.amdhsa_exception_fp_ieee_underflow 0
		.amdhsa_exception_fp_ieee_inexact 0
		.amdhsa_exception_int_div_zero 0
	.end_amdhsa_kernel
	.section	.text._ZN9rocsparseL23check_matrix_csr_deviceILj256ELj8E21rocsparse_complex_numIfEiiEEvT3_S3_T2_PKT1_PKS4_PKS3_SB_21rocsparse_index_base_22rocsparse_matrix_type_20rocsparse_fill_mode_23rocsparse_storage_mode_P22rocsparse_data_status_,"axG",@progbits,_ZN9rocsparseL23check_matrix_csr_deviceILj256ELj8E21rocsparse_complex_numIfEiiEEvT3_S3_T2_PKT1_PKS4_PKS3_SB_21rocsparse_index_base_22rocsparse_matrix_type_20rocsparse_fill_mode_23rocsparse_storage_mode_P22rocsparse_data_status_,comdat
.Lfunc_end17:
	.size	_ZN9rocsparseL23check_matrix_csr_deviceILj256ELj8E21rocsparse_complex_numIfEiiEEvT3_S3_T2_PKT1_PKS4_PKS3_SB_21rocsparse_index_base_22rocsparse_matrix_type_20rocsparse_fill_mode_23rocsparse_storage_mode_P22rocsparse_data_status_, .Lfunc_end17-_ZN9rocsparseL23check_matrix_csr_deviceILj256ELj8E21rocsparse_complex_numIfEiiEEvT3_S3_T2_PKT1_PKS4_PKS3_SB_21rocsparse_index_base_22rocsparse_matrix_type_20rocsparse_fill_mode_23rocsparse_storage_mode_P22rocsparse_data_status_
                                        ; -- End function
	.set _ZN9rocsparseL23check_matrix_csr_deviceILj256ELj8E21rocsparse_complex_numIfEiiEEvT3_S3_T2_PKT1_PKS4_PKS3_SB_21rocsparse_index_base_22rocsparse_matrix_type_20rocsparse_fill_mode_23rocsparse_storage_mode_P22rocsparse_data_status_.num_vgpr, 14
	.set _ZN9rocsparseL23check_matrix_csr_deviceILj256ELj8E21rocsparse_complex_numIfEiiEEvT3_S3_T2_PKT1_PKS4_PKS3_SB_21rocsparse_index_base_22rocsparse_matrix_type_20rocsparse_fill_mode_23rocsparse_storage_mode_P22rocsparse_data_status_.num_agpr, 0
	.set _ZN9rocsparseL23check_matrix_csr_deviceILj256ELj8E21rocsparse_complex_numIfEiiEEvT3_S3_T2_PKT1_PKS4_PKS3_SB_21rocsparse_index_base_22rocsparse_matrix_type_20rocsparse_fill_mode_23rocsparse_storage_mode_P22rocsparse_data_status_.numbered_sgpr, 50
	.set _ZN9rocsparseL23check_matrix_csr_deviceILj256ELj8E21rocsparse_complex_numIfEiiEEvT3_S3_T2_PKT1_PKS4_PKS3_SB_21rocsparse_index_base_22rocsparse_matrix_type_20rocsparse_fill_mode_23rocsparse_storage_mode_P22rocsparse_data_status_.num_named_barrier, 0
	.set _ZN9rocsparseL23check_matrix_csr_deviceILj256ELj8E21rocsparse_complex_numIfEiiEEvT3_S3_T2_PKT1_PKS4_PKS3_SB_21rocsparse_index_base_22rocsparse_matrix_type_20rocsparse_fill_mode_23rocsparse_storage_mode_P22rocsparse_data_status_.private_seg_size, 0
	.set _ZN9rocsparseL23check_matrix_csr_deviceILj256ELj8E21rocsparse_complex_numIfEiiEEvT3_S3_T2_PKT1_PKS4_PKS3_SB_21rocsparse_index_base_22rocsparse_matrix_type_20rocsparse_fill_mode_23rocsparse_storage_mode_P22rocsparse_data_status_.uses_vcc, 1
	.set _ZN9rocsparseL23check_matrix_csr_deviceILj256ELj8E21rocsparse_complex_numIfEiiEEvT3_S3_T2_PKT1_PKS4_PKS3_SB_21rocsparse_index_base_22rocsparse_matrix_type_20rocsparse_fill_mode_23rocsparse_storage_mode_P22rocsparse_data_status_.uses_flat_scratch, 0
	.set _ZN9rocsparseL23check_matrix_csr_deviceILj256ELj8E21rocsparse_complex_numIfEiiEEvT3_S3_T2_PKT1_PKS4_PKS3_SB_21rocsparse_index_base_22rocsparse_matrix_type_20rocsparse_fill_mode_23rocsparse_storage_mode_P22rocsparse_data_status_.has_dyn_sized_stack, 0
	.set _ZN9rocsparseL23check_matrix_csr_deviceILj256ELj8E21rocsparse_complex_numIfEiiEEvT3_S3_T2_PKT1_PKS4_PKS3_SB_21rocsparse_index_base_22rocsparse_matrix_type_20rocsparse_fill_mode_23rocsparse_storage_mode_P22rocsparse_data_status_.has_recursion, 0
	.set _ZN9rocsparseL23check_matrix_csr_deviceILj256ELj8E21rocsparse_complex_numIfEiiEEvT3_S3_T2_PKT1_PKS4_PKS3_SB_21rocsparse_index_base_22rocsparse_matrix_type_20rocsparse_fill_mode_23rocsparse_storage_mode_P22rocsparse_data_status_.has_indirect_call, 0
	.section	.AMDGPU.csdata,"",@progbits
; Kernel info:
; codeLenInByte = 868
; TotalNumSgprs: 54
; NumVgprs: 14
; ScratchSize: 0
; MemoryBound: 0
; FloatMode: 240
; IeeeMode: 1
; LDSByteSize: 0 bytes/workgroup (compile time only)
; SGPRBlocks: 6
; VGPRBlocks: 3
; NumSGPRsForWavesPerEU: 54
; NumVGPRsForWavesPerEU: 14
; Occupancy: 10
; WaveLimiterHint : 0
; COMPUTE_PGM_RSRC2:SCRATCH_EN: 0
; COMPUTE_PGM_RSRC2:USER_SGPR: 6
; COMPUTE_PGM_RSRC2:TRAP_HANDLER: 0
; COMPUTE_PGM_RSRC2:TGID_X_EN: 1
; COMPUTE_PGM_RSRC2:TGID_Y_EN: 0
; COMPUTE_PGM_RSRC2:TGID_Z_EN: 0
; COMPUTE_PGM_RSRC2:TIDIG_COMP_CNT: 0
	.section	.text._ZN9rocsparseL23check_matrix_csr_deviceILj256ELj16E21rocsparse_complex_numIfEiiEEvT3_S3_T2_PKT1_PKS4_PKS3_SB_21rocsparse_index_base_22rocsparse_matrix_type_20rocsparse_fill_mode_23rocsparse_storage_mode_P22rocsparse_data_status_,"axG",@progbits,_ZN9rocsparseL23check_matrix_csr_deviceILj256ELj16E21rocsparse_complex_numIfEiiEEvT3_S3_T2_PKT1_PKS4_PKS3_SB_21rocsparse_index_base_22rocsparse_matrix_type_20rocsparse_fill_mode_23rocsparse_storage_mode_P22rocsparse_data_status_,comdat
	.globl	_ZN9rocsparseL23check_matrix_csr_deviceILj256ELj16E21rocsparse_complex_numIfEiiEEvT3_S3_T2_PKT1_PKS4_PKS3_SB_21rocsparse_index_base_22rocsparse_matrix_type_20rocsparse_fill_mode_23rocsparse_storage_mode_P22rocsparse_data_status_ ; -- Begin function _ZN9rocsparseL23check_matrix_csr_deviceILj256ELj16E21rocsparse_complex_numIfEiiEEvT3_S3_T2_PKT1_PKS4_PKS3_SB_21rocsparse_index_base_22rocsparse_matrix_type_20rocsparse_fill_mode_23rocsparse_storage_mode_P22rocsparse_data_status_
	.p2align	8
	.type	_ZN9rocsparseL23check_matrix_csr_deviceILj256ELj16E21rocsparse_complex_numIfEiiEEvT3_S3_T2_PKT1_PKS4_PKS3_SB_21rocsparse_index_base_22rocsparse_matrix_type_20rocsparse_fill_mode_23rocsparse_storage_mode_P22rocsparse_data_status_,@function
_ZN9rocsparseL23check_matrix_csr_deviceILj256ELj16E21rocsparse_complex_numIfEiiEEvT3_S3_T2_PKT1_PKS4_PKS3_SB_21rocsparse_index_base_22rocsparse_matrix_type_20rocsparse_fill_mode_23rocsparse_storage_mode_P22rocsparse_data_status_: ; @_ZN9rocsparseL23check_matrix_csr_deviceILj256ELj16E21rocsparse_complex_numIfEiiEEvT3_S3_T2_PKT1_PKS4_PKS3_SB_21rocsparse_index_base_22rocsparse_matrix_type_20rocsparse_fill_mode_23rocsparse_storage_mode_P22rocsparse_data_status_
; %bb.0:
	s_load_dwordx2 s[16:17], s[4:5], 0x0
	v_lshl_or_b32 v1, s6, 8, v0
	v_lshrrev_b32_e32 v6, 4, v1
	s_waitcnt lgkmcnt(0)
	v_cmp_gt_i32_e32 vcc, s16, v6
	s_and_saveexec_b64 s[0:1], vcc
	s_cbranch_execz .LBB18_31
; %bb.1:
	s_load_dwordx2 s[0:1], s[4:5], 0x18
	v_lshlrev_b32_e32 v1, 2, v6
	s_mov_b64 s[8:9], -1
	v_mov_b32_e32 v10, 3
	s_waitcnt lgkmcnt(0)
	global_load_dwordx2 v[1:2], v1, s[0:1]
	s_load_dword s0, s[0:1], 0x0
	s_waitcnt vmcnt(0) lgkmcnt(0)
	v_subrev_u32_e32 v8, s0, v2
	v_cmp_lt_i32_e32 vcc, v2, v1
	v_cmp_gt_i32_e64 s[2:3], 0, v8
	v_subrev_u32_e32 v7, s0, v1
	s_or_b64 s[2:3], s[2:3], vcc
	v_cmp_lt_i32_e64 s[0:1], -1, v7
	s_xor_b64 s[2:3], s[2:3], -1
	s_and_b64 s[0:1], s[0:1], s[2:3]
	s_and_saveexec_b64 s[6:7], s[0:1]
	s_cbranch_execz .LBB18_29
; %bb.2:
	v_and_b32_e32 v0, 15, v0
	v_add_u32_e32 v0, v7, v0
	v_cmp_lt_u32_e32 vcc, v0, v8
	s_mov_b64 s[0:1], 0
	v_mov_b32_e32 v10, 3
	s_and_saveexec_b64 s[18:19], vcc
	s_cbranch_execz .LBB18_28
; %bb.3:
	s_load_dwordx8 s[8:15], s[4:5], 0x20
	s_load_dwordx2 s[20:21], s[4:5], 0x10
	s_mov_b64 s[22:23], 0
                                        ; implicit-def: $sgpr28_sgpr29
                                        ; implicit-def: $sgpr30_sgpr31
                                        ; implicit-def: $sgpr34_sgpr35
	s_waitcnt lgkmcnt(0)
	s_cmp_lg_u32 s13, 0
	s_cselect_b64 s[24:25], -1, 0
	s_cmp_lg_u32 s14, 0
	s_cselect_b64 s[26:27], -1, 0
	;; [unrolled: 2-line block ×3, first 2 shown]
	v_mov_b32_e32 v9, s9
	s_mov_b32 s9, 0x7f800000
	s_branch .LBB18_10
.LBB18_4:                               ;   in Loop: Header=BB18_10 Depth=1
	s_or_b64 exec, exec, s[48:49]
	s_orn2_b64 s[48:49], s[2:3], exec
	s_orn2_b64 s[0:1], s[42:43], exec
.LBB18_5:                               ;   in Loop: Header=BB18_10 Depth=1
	s_or_b64 exec, exec, s[46:47]
	s_orn2_b64 s[2:3], s[48:49], exec
	s_orn2_b64 s[0:1], s[0:1], exec
.LBB18_6:                               ;   in Loop: Header=BB18_10 Depth=1
	s_or_b64 exec, exec, s[44:45]
	s_orn2_b64 s[44:45], s[2:3], exec
	s_orn2_b64 s[2:3], s[0:1], exec
.LBB18_7:                               ;   in Loop: Header=BB18_10 Depth=1
	s_or_b64 exec, exec, s[40:41]
	s_orn2_b64 s[40:41], s[44:45], exec
	s_orn2_b64 s[0:1], s[2:3], exec
.LBB18_8:                               ;   in Loop: Header=BB18_10 Depth=1
	s_or_b64 exec, exec, s[38:39]
	s_andn2_b64 s[2:3], s[34:35], exec
	s_and_b64 s[34:35], s[40:41], exec
	s_or_b64 s[34:35], s[2:3], s[34:35]
	s_andn2_b64 s[2:3], s[30:31], exec
	s_and_b64 s[0:1], s[0:1], exec
	s_or_b64 s[30:31], s[2:3], s[0:1]
.LBB18_9:                               ;   in Loop: Header=BB18_10 Depth=1
	s_or_b64 exec, exec, s[36:37]
	s_and_b64 s[0:1], exec, s[30:31]
	s_or_b64 s[22:23], s[0:1], s[22:23]
	s_andn2_b64 s[0:1], s[28:29], exec
	s_and_b64 s[2:3], s[34:35], exec
	s_or_b64 s[28:29], s[0:1], s[2:3]
	s_andn2_b64 exec, exec, s[22:23]
	s_cbranch_execz .LBB18_27
.LBB18_10:                              ; =>This Inner Loop Header: Depth=1
	v_ashrrev_i32_e32 v1, 31, v0
	v_lshlrev_b64 v[4:5], 2, v[0:1]
	v_mov_b32_e32 v10, 4
	v_add_co_u32_e32 v2, vcc, s8, v4
	v_addc_co_u32_e32 v3, vcc, v9, v5, vcc
	global_load_dword v11, v[2:3], off
	s_or_b64 s[34:35], s[34:35], exec
	s_or_b64 s[30:31], s[30:31], exec
	s_waitcnt vmcnt(0)
	v_subrev_u32_e32 v12, s12, v11
	v_cmp_lt_i32_e32 vcc, -1, v12
	v_cmp_gt_i32_e64 s[0:1], s17, v12
	s_and_b64 s[0:1], vcc, s[0:1]
	s_and_saveexec_b64 s[36:37], s[0:1]
	s_cbranch_execz .LBB18_9
; %bb.11:                               ;   in Loop: Header=BB18_10 Depth=1
	v_cmp_le_i32_e64 s[42:43], v0, v7
	v_cmp_gt_i32_e32 vcc, v0, v7
	v_mov_b32_e32 v10, 4
	s_mov_b64 s[2:3], s[42:43]
	s_and_saveexec_b64 s[38:39], vcc
	s_cbranch_execz .LBB18_13
; %bb.12:                               ;   in Loop: Header=BB18_10 Depth=1
	v_mov_b32_e32 v10, s11
	v_add_co_u32_e32 v4, vcc, s10, v4
	v_addc_co_u32_e32 v5, vcc, v10, v5, vcc
	global_load_dwordx2 v[4:5], v[4:5], off offset:-4
	v_mov_b32_e32 v10, 5
	s_waitcnt vmcnt(0)
	v_subrev_u32_e32 v13, s12, v4
	v_cmp_lt_i32_e64 s[0:1], -1, v13
	v_cmp_gt_i32_e64 s[2:3], s17, v13
	s_and_b64 s[0:1], s[0:1], s[2:3]
	v_cmp_ne_u32_e32 vcc, v5, v4
	s_xor_b64 s[0:1], s[0:1], -1
	s_or_b64 s[0:1], vcc, s[0:1]
	s_andn2_b64 s[2:3], s[42:43], exec
	s_and_b64 s[0:1], s[0:1], exec
	s_or_b64 s[2:3], s[2:3], s[0:1]
.LBB18_13:                              ;   in Loop: Header=BB18_10 Depth=1
	s_or_b64 exec, exec, s[38:39]
	s_mov_b64 s[0:1], -1
	s_mov_b64 s[40:41], -1
	s_and_saveexec_b64 s[38:39], s[2:3]
	s_cbranch_execz .LBB18_8
; %bb.14:                               ;   in Loop: Header=BB18_10 Depth=1
	v_lshlrev_b64 v[4:5], 3, v[0:1]
	v_mov_b32_e32 v1, s21
	v_add_co_u32_e32 v4, vcc, s20, v4
	v_addc_co_u32_e32 v5, vcc, v1, v5, vcc
	global_load_dwordx2 v[4:5], v[4:5], off
	v_mov_b32_e32 v10, 1
	s_mov_b64 s[2:3], -1
	s_mov_b64 s[44:45], -1
	s_waitcnt vmcnt(0)
	v_cmp_neq_f32_e32 vcc, s9, v4
	v_cmp_neq_f32_e64 s[0:1], s9, v5
	s_and_b64 s[0:1], vcc, s[0:1]
	s_and_saveexec_b64 s[40:41], s[0:1]
	s_cbranch_execz .LBB18_7
; %bb.15:                               ;   in Loop: Header=BB18_10 Depth=1
	v_cmp_o_f32_e32 vcc, v4, v5
	v_mov_b32_e32 v10, 2
	s_mov_b64 s[0:1], -1
	s_and_saveexec_b64 s[44:45], vcc
	s_cbranch_execz .LBB18_6
; %bb.16:                               ;   in Loop: Header=BB18_10 Depth=1
	s_and_b64 vcc, exec, s[24:25]
	s_cbranch_vccz .LBB18_19
; %bb.17:                               ;   in Loop: Header=BB18_10 Depth=1
	s_and_b64 vcc, exec, s[26:27]
	s_cbranch_vccz .LBB18_20
; %bb.18:                               ;   in Loop: Header=BB18_10 Depth=1
	v_cmp_le_i32_e32 vcc, v6, v12
	s_mov_b32 s13, 7
	s_and_b64 s[2:3], vcc, exec
	s_cbranch_execz .LBB18_21
	s_branch .LBB18_22
.LBB18_19:                              ;   in Loop: Header=BB18_10 Depth=1
	s_mov_b32 s13, 2
	s_branch .LBB18_22
.LBB18_20:                              ;   in Loop: Header=BB18_10 Depth=1
	s_mov_b64 s[2:3], 0
	s_mov_b32 s13, 2
.LBB18_21:                              ;   in Loop: Header=BB18_10 Depth=1
	v_cmp_ge_i32_e32 vcc, v6, v12
	s_andn2_b64 s[2:3], s[2:3], exec
	s_and_b64 s[46:47], vcc, exec
	s_mov_b32 s13, 7
	s_or_b64 s[2:3], s[2:3], s[46:47]
.LBB18_22:                              ;   in Loop: Header=BB18_10 Depth=1
	v_mov_b32_e32 v10, s13
	s_mov_b64 s[48:49], -1
	s_and_saveexec_b64 s[46:47], s[2:3]
	s_cbranch_execz .LBB18_5
; %bb.23:                               ;   in Loop: Header=BB18_10 Depth=1
	s_nor_b64 s[2:3], s[14:15], s[42:43]
	s_mov_b64 s[42:43], -1
	v_mov_b32_e32 v10, s13
	s_and_saveexec_b64 s[48:49], s[2:3]
	s_cbranch_execz .LBB18_25
; %bb.24:                               ;   in Loop: Header=BB18_10 Depth=1
	global_load_dword v1, v[2:3], off offset:-4
	v_mov_b32_e32 v10, 6
	s_waitcnt vmcnt(0)
	v_subrev_u32_e32 v2, s12, v1
	v_cmp_lt_i32_e64 s[0:1], -1, v2
	v_cmp_gt_i32_e64 s[2:3], s17, v2
	s_and_b64 s[0:1], s[0:1], s[2:3]
	v_cmp_gt_i32_e32 vcc, v11, v1
	s_xor_b64 s[0:1], s[0:1], -1
	s_or_b64 s[0:1], vcc, s[0:1]
	s_orn2_b64 s[0:1], s[0:1], exec
.LBB18_25:                              ;   in Loop: Header=BB18_10 Depth=1
	s_or_b64 exec, exec, s[48:49]
	s_mov_b64 s[2:3], -1
	s_and_saveexec_b64 s[48:49], s[0:1]
	s_cbranch_execz .LBB18_4
; %bb.26:                               ;   in Loop: Header=BB18_10 Depth=1
	v_add_u32_e32 v0, 16, v0
	v_cmp_ge_i32_e32 vcc, v0, v8
	s_xor_b64 s[2:3], exec, -1
	s_orn2_b64 s[42:43], vcc, exec
	s_branch .LBB18_4
.LBB18_27:
	s_or_b64 exec, exec, s[22:23]
	s_and_b64 s[0:1], s[28:29], exec
.LBB18_28:
	s_or_b64 exec, exec, s[18:19]
	s_orn2_b64 s[8:9], s[0:1], exec
.LBB18_29:
	s_or_b64 exec, exec, s[6:7]
	s_and_b64 exec, exec, s[8:9]
	s_cbranch_execz .LBB18_31
; %bb.30:
	s_load_dwordx2 s[0:1], s[4:5], 0x40
	v_mov_b32_e32 v0, 0
	s_waitcnt lgkmcnt(0)
	global_store_dword v0, v10, s[0:1]
.LBB18_31:
	s_endpgm
	.section	.rodata,"a",@progbits
	.p2align	6, 0x0
	.amdhsa_kernel _ZN9rocsparseL23check_matrix_csr_deviceILj256ELj16E21rocsparse_complex_numIfEiiEEvT3_S3_T2_PKT1_PKS4_PKS3_SB_21rocsparse_index_base_22rocsparse_matrix_type_20rocsparse_fill_mode_23rocsparse_storage_mode_P22rocsparse_data_status_
		.amdhsa_group_segment_fixed_size 0
		.amdhsa_private_segment_fixed_size 0
		.amdhsa_kernarg_size 72
		.amdhsa_user_sgpr_count 6
		.amdhsa_user_sgpr_private_segment_buffer 1
		.amdhsa_user_sgpr_dispatch_ptr 0
		.amdhsa_user_sgpr_queue_ptr 0
		.amdhsa_user_sgpr_kernarg_segment_ptr 1
		.amdhsa_user_sgpr_dispatch_id 0
		.amdhsa_user_sgpr_flat_scratch_init 0
		.amdhsa_user_sgpr_private_segment_size 0
		.amdhsa_uses_dynamic_stack 0
		.amdhsa_system_sgpr_private_segment_wavefront_offset 0
		.amdhsa_system_sgpr_workgroup_id_x 1
		.amdhsa_system_sgpr_workgroup_id_y 0
		.amdhsa_system_sgpr_workgroup_id_z 0
		.amdhsa_system_sgpr_workgroup_info 0
		.amdhsa_system_vgpr_workitem_id 0
		.amdhsa_next_free_vgpr 14
		.amdhsa_next_free_sgpr 50
		.amdhsa_reserve_vcc 1
		.amdhsa_reserve_flat_scratch 0
		.amdhsa_float_round_mode_32 0
		.amdhsa_float_round_mode_16_64 0
		.amdhsa_float_denorm_mode_32 3
		.amdhsa_float_denorm_mode_16_64 3
		.amdhsa_dx10_clamp 1
		.amdhsa_ieee_mode 1
		.amdhsa_fp16_overflow 0
		.amdhsa_exception_fp_ieee_invalid_op 0
		.amdhsa_exception_fp_denorm_src 0
		.amdhsa_exception_fp_ieee_div_zero 0
		.amdhsa_exception_fp_ieee_overflow 0
		.amdhsa_exception_fp_ieee_underflow 0
		.amdhsa_exception_fp_ieee_inexact 0
		.amdhsa_exception_int_div_zero 0
	.end_amdhsa_kernel
	.section	.text._ZN9rocsparseL23check_matrix_csr_deviceILj256ELj16E21rocsparse_complex_numIfEiiEEvT3_S3_T2_PKT1_PKS4_PKS3_SB_21rocsparse_index_base_22rocsparse_matrix_type_20rocsparse_fill_mode_23rocsparse_storage_mode_P22rocsparse_data_status_,"axG",@progbits,_ZN9rocsparseL23check_matrix_csr_deviceILj256ELj16E21rocsparse_complex_numIfEiiEEvT3_S3_T2_PKT1_PKS4_PKS3_SB_21rocsparse_index_base_22rocsparse_matrix_type_20rocsparse_fill_mode_23rocsparse_storage_mode_P22rocsparse_data_status_,comdat
.Lfunc_end18:
	.size	_ZN9rocsparseL23check_matrix_csr_deviceILj256ELj16E21rocsparse_complex_numIfEiiEEvT3_S3_T2_PKT1_PKS4_PKS3_SB_21rocsparse_index_base_22rocsparse_matrix_type_20rocsparse_fill_mode_23rocsparse_storage_mode_P22rocsparse_data_status_, .Lfunc_end18-_ZN9rocsparseL23check_matrix_csr_deviceILj256ELj16E21rocsparse_complex_numIfEiiEEvT3_S3_T2_PKT1_PKS4_PKS3_SB_21rocsparse_index_base_22rocsparse_matrix_type_20rocsparse_fill_mode_23rocsparse_storage_mode_P22rocsparse_data_status_
                                        ; -- End function
	.set _ZN9rocsparseL23check_matrix_csr_deviceILj256ELj16E21rocsparse_complex_numIfEiiEEvT3_S3_T2_PKT1_PKS4_PKS3_SB_21rocsparse_index_base_22rocsparse_matrix_type_20rocsparse_fill_mode_23rocsparse_storage_mode_P22rocsparse_data_status_.num_vgpr, 14
	.set _ZN9rocsparseL23check_matrix_csr_deviceILj256ELj16E21rocsparse_complex_numIfEiiEEvT3_S3_T2_PKT1_PKS4_PKS3_SB_21rocsparse_index_base_22rocsparse_matrix_type_20rocsparse_fill_mode_23rocsparse_storage_mode_P22rocsparse_data_status_.num_agpr, 0
	.set _ZN9rocsparseL23check_matrix_csr_deviceILj256ELj16E21rocsparse_complex_numIfEiiEEvT3_S3_T2_PKT1_PKS4_PKS3_SB_21rocsparse_index_base_22rocsparse_matrix_type_20rocsparse_fill_mode_23rocsparse_storage_mode_P22rocsparse_data_status_.numbered_sgpr, 50
	.set _ZN9rocsparseL23check_matrix_csr_deviceILj256ELj16E21rocsparse_complex_numIfEiiEEvT3_S3_T2_PKT1_PKS4_PKS3_SB_21rocsparse_index_base_22rocsparse_matrix_type_20rocsparse_fill_mode_23rocsparse_storage_mode_P22rocsparse_data_status_.num_named_barrier, 0
	.set _ZN9rocsparseL23check_matrix_csr_deviceILj256ELj16E21rocsparse_complex_numIfEiiEEvT3_S3_T2_PKT1_PKS4_PKS3_SB_21rocsparse_index_base_22rocsparse_matrix_type_20rocsparse_fill_mode_23rocsparse_storage_mode_P22rocsparse_data_status_.private_seg_size, 0
	.set _ZN9rocsparseL23check_matrix_csr_deviceILj256ELj16E21rocsparse_complex_numIfEiiEEvT3_S3_T2_PKT1_PKS4_PKS3_SB_21rocsparse_index_base_22rocsparse_matrix_type_20rocsparse_fill_mode_23rocsparse_storage_mode_P22rocsparse_data_status_.uses_vcc, 1
	.set _ZN9rocsparseL23check_matrix_csr_deviceILj256ELj16E21rocsparse_complex_numIfEiiEEvT3_S3_T2_PKT1_PKS4_PKS3_SB_21rocsparse_index_base_22rocsparse_matrix_type_20rocsparse_fill_mode_23rocsparse_storage_mode_P22rocsparse_data_status_.uses_flat_scratch, 0
	.set _ZN9rocsparseL23check_matrix_csr_deviceILj256ELj16E21rocsparse_complex_numIfEiiEEvT3_S3_T2_PKT1_PKS4_PKS3_SB_21rocsparse_index_base_22rocsparse_matrix_type_20rocsparse_fill_mode_23rocsparse_storage_mode_P22rocsparse_data_status_.has_dyn_sized_stack, 0
	.set _ZN9rocsparseL23check_matrix_csr_deviceILj256ELj16E21rocsparse_complex_numIfEiiEEvT3_S3_T2_PKT1_PKS4_PKS3_SB_21rocsparse_index_base_22rocsparse_matrix_type_20rocsparse_fill_mode_23rocsparse_storage_mode_P22rocsparse_data_status_.has_recursion, 0
	.set _ZN9rocsparseL23check_matrix_csr_deviceILj256ELj16E21rocsparse_complex_numIfEiiEEvT3_S3_T2_PKT1_PKS4_PKS3_SB_21rocsparse_index_base_22rocsparse_matrix_type_20rocsparse_fill_mode_23rocsparse_storage_mode_P22rocsparse_data_status_.has_indirect_call, 0
	.section	.AMDGPU.csdata,"",@progbits
; Kernel info:
; codeLenInByte = 868
; TotalNumSgprs: 54
; NumVgprs: 14
; ScratchSize: 0
; MemoryBound: 0
; FloatMode: 240
; IeeeMode: 1
; LDSByteSize: 0 bytes/workgroup (compile time only)
; SGPRBlocks: 6
; VGPRBlocks: 3
; NumSGPRsForWavesPerEU: 54
; NumVGPRsForWavesPerEU: 14
; Occupancy: 10
; WaveLimiterHint : 0
; COMPUTE_PGM_RSRC2:SCRATCH_EN: 0
; COMPUTE_PGM_RSRC2:USER_SGPR: 6
; COMPUTE_PGM_RSRC2:TRAP_HANDLER: 0
; COMPUTE_PGM_RSRC2:TGID_X_EN: 1
; COMPUTE_PGM_RSRC2:TGID_Y_EN: 0
; COMPUTE_PGM_RSRC2:TGID_Z_EN: 0
; COMPUTE_PGM_RSRC2:TIDIG_COMP_CNT: 0
	.section	.text._ZN9rocsparseL23check_matrix_csr_deviceILj256ELj32E21rocsparse_complex_numIfEiiEEvT3_S3_T2_PKT1_PKS4_PKS3_SB_21rocsparse_index_base_22rocsparse_matrix_type_20rocsparse_fill_mode_23rocsparse_storage_mode_P22rocsparse_data_status_,"axG",@progbits,_ZN9rocsparseL23check_matrix_csr_deviceILj256ELj32E21rocsparse_complex_numIfEiiEEvT3_S3_T2_PKT1_PKS4_PKS3_SB_21rocsparse_index_base_22rocsparse_matrix_type_20rocsparse_fill_mode_23rocsparse_storage_mode_P22rocsparse_data_status_,comdat
	.globl	_ZN9rocsparseL23check_matrix_csr_deviceILj256ELj32E21rocsparse_complex_numIfEiiEEvT3_S3_T2_PKT1_PKS4_PKS3_SB_21rocsparse_index_base_22rocsparse_matrix_type_20rocsparse_fill_mode_23rocsparse_storage_mode_P22rocsparse_data_status_ ; -- Begin function _ZN9rocsparseL23check_matrix_csr_deviceILj256ELj32E21rocsparse_complex_numIfEiiEEvT3_S3_T2_PKT1_PKS4_PKS3_SB_21rocsparse_index_base_22rocsparse_matrix_type_20rocsparse_fill_mode_23rocsparse_storage_mode_P22rocsparse_data_status_
	.p2align	8
	.type	_ZN9rocsparseL23check_matrix_csr_deviceILj256ELj32E21rocsparse_complex_numIfEiiEEvT3_S3_T2_PKT1_PKS4_PKS3_SB_21rocsparse_index_base_22rocsparse_matrix_type_20rocsparse_fill_mode_23rocsparse_storage_mode_P22rocsparse_data_status_,@function
_ZN9rocsparseL23check_matrix_csr_deviceILj256ELj32E21rocsparse_complex_numIfEiiEEvT3_S3_T2_PKT1_PKS4_PKS3_SB_21rocsparse_index_base_22rocsparse_matrix_type_20rocsparse_fill_mode_23rocsparse_storage_mode_P22rocsparse_data_status_: ; @_ZN9rocsparseL23check_matrix_csr_deviceILj256ELj32E21rocsparse_complex_numIfEiiEEvT3_S3_T2_PKT1_PKS4_PKS3_SB_21rocsparse_index_base_22rocsparse_matrix_type_20rocsparse_fill_mode_23rocsparse_storage_mode_P22rocsparse_data_status_
; %bb.0:
	s_load_dwordx2 s[16:17], s[4:5], 0x0
	v_lshl_or_b32 v1, s6, 8, v0
	v_lshrrev_b32_e32 v6, 5, v1
	s_waitcnt lgkmcnt(0)
	v_cmp_gt_i32_e32 vcc, s16, v6
	s_and_saveexec_b64 s[0:1], vcc
	s_cbranch_execz .LBB19_31
; %bb.1:
	s_load_dwordx2 s[0:1], s[4:5], 0x18
	v_lshlrev_b32_e32 v1, 2, v6
	s_mov_b64 s[8:9], -1
	v_mov_b32_e32 v10, 3
	s_waitcnt lgkmcnt(0)
	global_load_dwordx2 v[1:2], v1, s[0:1]
	s_load_dword s0, s[0:1], 0x0
	s_waitcnt vmcnt(0) lgkmcnt(0)
	v_subrev_u32_e32 v8, s0, v2
	v_cmp_lt_i32_e32 vcc, v2, v1
	v_cmp_gt_i32_e64 s[2:3], 0, v8
	v_subrev_u32_e32 v7, s0, v1
	s_or_b64 s[2:3], s[2:3], vcc
	v_cmp_lt_i32_e64 s[0:1], -1, v7
	s_xor_b64 s[2:3], s[2:3], -1
	s_and_b64 s[0:1], s[0:1], s[2:3]
	s_and_saveexec_b64 s[6:7], s[0:1]
	s_cbranch_execz .LBB19_29
; %bb.2:
	v_and_b32_e32 v0, 31, v0
	v_add_u32_e32 v0, v7, v0
	v_cmp_lt_u32_e32 vcc, v0, v8
	s_mov_b64 s[0:1], 0
	v_mov_b32_e32 v10, 3
	s_and_saveexec_b64 s[18:19], vcc
	s_cbranch_execz .LBB19_28
; %bb.3:
	s_load_dwordx8 s[8:15], s[4:5], 0x20
	s_load_dwordx2 s[20:21], s[4:5], 0x10
	s_mov_b64 s[22:23], 0
                                        ; implicit-def: $sgpr28_sgpr29
                                        ; implicit-def: $sgpr30_sgpr31
                                        ; implicit-def: $sgpr34_sgpr35
	s_waitcnt lgkmcnt(0)
	s_cmp_lg_u32 s13, 0
	s_cselect_b64 s[24:25], -1, 0
	s_cmp_lg_u32 s14, 0
	s_cselect_b64 s[26:27], -1, 0
	s_cmp_lg_u32 s15, 0
	s_cselect_b64 s[14:15], -1, 0
	v_mov_b32_e32 v9, s9
	s_mov_b32 s9, 0x7f800000
	s_branch .LBB19_10
.LBB19_4:                               ;   in Loop: Header=BB19_10 Depth=1
	s_or_b64 exec, exec, s[48:49]
	s_orn2_b64 s[48:49], s[2:3], exec
	s_orn2_b64 s[0:1], s[42:43], exec
.LBB19_5:                               ;   in Loop: Header=BB19_10 Depth=1
	s_or_b64 exec, exec, s[46:47]
	s_orn2_b64 s[2:3], s[48:49], exec
	s_orn2_b64 s[0:1], s[0:1], exec
.LBB19_6:                               ;   in Loop: Header=BB19_10 Depth=1
	s_or_b64 exec, exec, s[44:45]
	s_orn2_b64 s[44:45], s[2:3], exec
	s_orn2_b64 s[2:3], s[0:1], exec
.LBB19_7:                               ;   in Loop: Header=BB19_10 Depth=1
	s_or_b64 exec, exec, s[40:41]
	s_orn2_b64 s[40:41], s[44:45], exec
	s_orn2_b64 s[0:1], s[2:3], exec
.LBB19_8:                               ;   in Loop: Header=BB19_10 Depth=1
	s_or_b64 exec, exec, s[38:39]
	s_andn2_b64 s[2:3], s[34:35], exec
	s_and_b64 s[34:35], s[40:41], exec
	s_or_b64 s[34:35], s[2:3], s[34:35]
	s_andn2_b64 s[2:3], s[30:31], exec
	s_and_b64 s[0:1], s[0:1], exec
	s_or_b64 s[30:31], s[2:3], s[0:1]
.LBB19_9:                               ;   in Loop: Header=BB19_10 Depth=1
	s_or_b64 exec, exec, s[36:37]
	s_and_b64 s[0:1], exec, s[30:31]
	s_or_b64 s[22:23], s[0:1], s[22:23]
	s_andn2_b64 s[0:1], s[28:29], exec
	s_and_b64 s[2:3], s[34:35], exec
	s_or_b64 s[28:29], s[0:1], s[2:3]
	s_andn2_b64 exec, exec, s[22:23]
	s_cbranch_execz .LBB19_27
.LBB19_10:                              ; =>This Inner Loop Header: Depth=1
	v_ashrrev_i32_e32 v1, 31, v0
	v_lshlrev_b64 v[4:5], 2, v[0:1]
	v_mov_b32_e32 v10, 4
	v_add_co_u32_e32 v2, vcc, s8, v4
	v_addc_co_u32_e32 v3, vcc, v9, v5, vcc
	global_load_dword v11, v[2:3], off
	s_or_b64 s[34:35], s[34:35], exec
	s_or_b64 s[30:31], s[30:31], exec
	s_waitcnt vmcnt(0)
	v_subrev_u32_e32 v12, s12, v11
	v_cmp_lt_i32_e32 vcc, -1, v12
	v_cmp_gt_i32_e64 s[0:1], s17, v12
	s_and_b64 s[0:1], vcc, s[0:1]
	s_and_saveexec_b64 s[36:37], s[0:1]
	s_cbranch_execz .LBB19_9
; %bb.11:                               ;   in Loop: Header=BB19_10 Depth=1
	v_cmp_le_i32_e64 s[42:43], v0, v7
	v_cmp_gt_i32_e32 vcc, v0, v7
	v_mov_b32_e32 v10, 4
	s_mov_b64 s[2:3], s[42:43]
	s_and_saveexec_b64 s[38:39], vcc
	s_cbranch_execz .LBB19_13
; %bb.12:                               ;   in Loop: Header=BB19_10 Depth=1
	v_mov_b32_e32 v10, s11
	v_add_co_u32_e32 v4, vcc, s10, v4
	v_addc_co_u32_e32 v5, vcc, v10, v5, vcc
	global_load_dwordx2 v[4:5], v[4:5], off offset:-4
	v_mov_b32_e32 v10, 5
	s_waitcnt vmcnt(0)
	v_subrev_u32_e32 v13, s12, v4
	v_cmp_lt_i32_e64 s[0:1], -1, v13
	v_cmp_gt_i32_e64 s[2:3], s17, v13
	s_and_b64 s[0:1], s[0:1], s[2:3]
	v_cmp_ne_u32_e32 vcc, v5, v4
	s_xor_b64 s[0:1], s[0:1], -1
	s_or_b64 s[0:1], vcc, s[0:1]
	s_andn2_b64 s[2:3], s[42:43], exec
	s_and_b64 s[0:1], s[0:1], exec
	s_or_b64 s[2:3], s[2:3], s[0:1]
.LBB19_13:                              ;   in Loop: Header=BB19_10 Depth=1
	s_or_b64 exec, exec, s[38:39]
	s_mov_b64 s[0:1], -1
	s_mov_b64 s[40:41], -1
	s_and_saveexec_b64 s[38:39], s[2:3]
	s_cbranch_execz .LBB19_8
; %bb.14:                               ;   in Loop: Header=BB19_10 Depth=1
	v_lshlrev_b64 v[4:5], 3, v[0:1]
	v_mov_b32_e32 v1, s21
	v_add_co_u32_e32 v4, vcc, s20, v4
	v_addc_co_u32_e32 v5, vcc, v1, v5, vcc
	global_load_dwordx2 v[4:5], v[4:5], off
	v_mov_b32_e32 v10, 1
	s_mov_b64 s[2:3], -1
	s_mov_b64 s[44:45], -1
	s_waitcnt vmcnt(0)
	v_cmp_neq_f32_e32 vcc, s9, v4
	v_cmp_neq_f32_e64 s[0:1], s9, v5
	s_and_b64 s[0:1], vcc, s[0:1]
	s_and_saveexec_b64 s[40:41], s[0:1]
	s_cbranch_execz .LBB19_7
; %bb.15:                               ;   in Loop: Header=BB19_10 Depth=1
	v_cmp_o_f32_e32 vcc, v4, v5
	v_mov_b32_e32 v10, 2
	s_mov_b64 s[0:1], -1
	s_and_saveexec_b64 s[44:45], vcc
	s_cbranch_execz .LBB19_6
; %bb.16:                               ;   in Loop: Header=BB19_10 Depth=1
	s_and_b64 vcc, exec, s[24:25]
	s_cbranch_vccz .LBB19_19
; %bb.17:                               ;   in Loop: Header=BB19_10 Depth=1
	s_and_b64 vcc, exec, s[26:27]
	s_cbranch_vccz .LBB19_20
; %bb.18:                               ;   in Loop: Header=BB19_10 Depth=1
	v_cmp_le_i32_e32 vcc, v6, v12
	s_mov_b32 s13, 7
	s_and_b64 s[2:3], vcc, exec
	s_cbranch_execz .LBB19_21
	s_branch .LBB19_22
.LBB19_19:                              ;   in Loop: Header=BB19_10 Depth=1
	s_mov_b32 s13, 2
	s_branch .LBB19_22
.LBB19_20:                              ;   in Loop: Header=BB19_10 Depth=1
	s_mov_b64 s[2:3], 0
	s_mov_b32 s13, 2
.LBB19_21:                              ;   in Loop: Header=BB19_10 Depth=1
	v_cmp_ge_i32_e32 vcc, v6, v12
	s_andn2_b64 s[2:3], s[2:3], exec
	s_and_b64 s[46:47], vcc, exec
	s_mov_b32 s13, 7
	s_or_b64 s[2:3], s[2:3], s[46:47]
.LBB19_22:                              ;   in Loop: Header=BB19_10 Depth=1
	v_mov_b32_e32 v10, s13
	s_mov_b64 s[48:49], -1
	s_and_saveexec_b64 s[46:47], s[2:3]
	s_cbranch_execz .LBB19_5
; %bb.23:                               ;   in Loop: Header=BB19_10 Depth=1
	s_nor_b64 s[2:3], s[14:15], s[42:43]
	s_mov_b64 s[42:43], -1
	v_mov_b32_e32 v10, s13
	s_and_saveexec_b64 s[48:49], s[2:3]
	s_cbranch_execz .LBB19_25
; %bb.24:                               ;   in Loop: Header=BB19_10 Depth=1
	global_load_dword v1, v[2:3], off offset:-4
	v_mov_b32_e32 v10, 6
	s_waitcnt vmcnt(0)
	v_subrev_u32_e32 v2, s12, v1
	v_cmp_lt_i32_e64 s[0:1], -1, v2
	v_cmp_gt_i32_e64 s[2:3], s17, v2
	s_and_b64 s[0:1], s[0:1], s[2:3]
	v_cmp_gt_i32_e32 vcc, v11, v1
	s_xor_b64 s[0:1], s[0:1], -1
	s_or_b64 s[0:1], vcc, s[0:1]
	s_orn2_b64 s[0:1], s[0:1], exec
.LBB19_25:                              ;   in Loop: Header=BB19_10 Depth=1
	s_or_b64 exec, exec, s[48:49]
	s_mov_b64 s[2:3], -1
	s_and_saveexec_b64 s[48:49], s[0:1]
	s_cbranch_execz .LBB19_4
; %bb.26:                               ;   in Loop: Header=BB19_10 Depth=1
	v_add_u32_e32 v0, 32, v0
	v_cmp_ge_i32_e32 vcc, v0, v8
	s_xor_b64 s[2:3], exec, -1
	s_orn2_b64 s[42:43], vcc, exec
	s_branch .LBB19_4
.LBB19_27:
	s_or_b64 exec, exec, s[22:23]
	s_and_b64 s[0:1], s[28:29], exec
.LBB19_28:
	s_or_b64 exec, exec, s[18:19]
	s_orn2_b64 s[8:9], s[0:1], exec
.LBB19_29:
	s_or_b64 exec, exec, s[6:7]
	s_and_b64 exec, exec, s[8:9]
	s_cbranch_execz .LBB19_31
; %bb.30:
	s_load_dwordx2 s[0:1], s[4:5], 0x40
	v_mov_b32_e32 v0, 0
	s_waitcnt lgkmcnt(0)
	global_store_dword v0, v10, s[0:1]
.LBB19_31:
	s_endpgm
	.section	.rodata,"a",@progbits
	.p2align	6, 0x0
	.amdhsa_kernel _ZN9rocsparseL23check_matrix_csr_deviceILj256ELj32E21rocsparse_complex_numIfEiiEEvT3_S3_T2_PKT1_PKS4_PKS3_SB_21rocsparse_index_base_22rocsparse_matrix_type_20rocsparse_fill_mode_23rocsparse_storage_mode_P22rocsparse_data_status_
		.amdhsa_group_segment_fixed_size 0
		.amdhsa_private_segment_fixed_size 0
		.amdhsa_kernarg_size 72
		.amdhsa_user_sgpr_count 6
		.amdhsa_user_sgpr_private_segment_buffer 1
		.amdhsa_user_sgpr_dispatch_ptr 0
		.amdhsa_user_sgpr_queue_ptr 0
		.amdhsa_user_sgpr_kernarg_segment_ptr 1
		.amdhsa_user_sgpr_dispatch_id 0
		.amdhsa_user_sgpr_flat_scratch_init 0
		.amdhsa_user_sgpr_private_segment_size 0
		.amdhsa_uses_dynamic_stack 0
		.amdhsa_system_sgpr_private_segment_wavefront_offset 0
		.amdhsa_system_sgpr_workgroup_id_x 1
		.amdhsa_system_sgpr_workgroup_id_y 0
		.amdhsa_system_sgpr_workgroup_id_z 0
		.amdhsa_system_sgpr_workgroup_info 0
		.amdhsa_system_vgpr_workitem_id 0
		.amdhsa_next_free_vgpr 14
		.amdhsa_next_free_sgpr 50
		.amdhsa_reserve_vcc 1
		.amdhsa_reserve_flat_scratch 0
		.amdhsa_float_round_mode_32 0
		.amdhsa_float_round_mode_16_64 0
		.amdhsa_float_denorm_mode_32 3
		.amdhsa_float_denorm_mode_16_64 3
		.amdhsa_dx10_clamp 1
		.amdhsa_ieee_mode 1
		.amdhsa_fp16_overflow 0
		.amdhsa_exception_fp_ieee_invalid_op 0
		.amdhsa_exception_fp_denorm_src 0
		.amdhsa_exception_fp_ieee_div_zero 0
		.amdhsa_exception_fp_ieee_overflow 0
		.amdhsa_exception_fp_ieee_underflow 0
		.amdhsa_exception_fp_ieee_inexact 0
		.amdhsa_exception_int_div_zero 0
	.end_amdhsa_kernel
	.section	.text._ZN9rocsparseL23check_matrix_csr_deviceILj256ELj32E21rocsparse_complex_numIfEiiEEvT3_S3_T2_PKT1_PKS4_PKS3_SB_21rocsparse_index_base_22rocsparse_matrix_type_20rocsparse_fill_mode_23rocsparse_storage_mode_P22rocsparse_data_status_,"axG",@progbits,_ZN9rocsparseL23check_matrix_csr_deviceILj256ELj32E21rocsparse_complex_numIfEiiEEvT3_S3_T2_PKT1_PKS4_PKS3_SB_21rocsparse_index_base_22rocsparse_matrix_type_20rocsparse_fill_mode_23rocsparse_storage_mode_P22rocsparse_data_status_,comdat
.Lfunc_end19:
	.size	_ZN9rocsparseL23check_matrix_csr_deviceILj256ELj32E21rocsparse_complex_numIfEiiEEvT3_S3_T2_PKT1_PKS4_PKS3_SB_21rocsparse_index_base_22rocsparse_matrix_type_20rocsparse_fill_mode_23rocsparse_storage_mode_P22rocsparse_data_status_, .Lfunc_end19-_ZN9rocsparseL23check_matrix_csr_deviceILj256ELj32E21rocsparse_complex_numIfEiiEEvT3_S3_T2_PKT1_PKS4_PKS3_SB_21rocsparse_index_base_22rocsparse_matrix_type_20rocsparse_fill_mode_23rocsparse_storage_mode_P22rocsparse_data_status_
                                        ; -- End function
	.set _ZN9rocsparseL23check_matrix_csr_deviceILj256ELj32E21rocsparse_complex_numIfEiiEEvT3_S3_T2_PKT1_PKS4_PKS3_SB_21rocsparse_index_base_22rocsparse_matrix_type_20rocsparse_fill_mode_23rocsparse_storage_mode_P22rocsparse_data_status_.num_vgpr, 14
	.set _ZN9rocsparseL23check_matrix_csr_deviceILj256ELj32E21rocsparse_complex_numIfEiiEEvT3_S3_T2_PKT1_PKS4_PKS3_SB_21rocsparse_index_base_22rocsparse_matrix_type_20rocsparse_fill_mode_23rocsparse_storage_mode_P22rocsparse_data_status_.num_agpr, 0
	.set _ZN9rocsparseL23check_matrix_csr_deviceILj256ELj32E21rocsparse_complex_numIfEiiEEvT3_S3_T2_PKT1_PKS4_PKS3_SB_21rocsparse_index_base_22rocsparse_matrix_type_20rocsparse_fill_mode_23rocsparse_storage_mode_P22rocsparse_data_status_.numbered_sgpr, 50
	.set _ZN9rocsparseL23check_matrix_csr_deviceILj256ELj32E21rocsparse_complex_numIfEiiEEvT3_S3_T2_PKT1_PKS4_PKS3_SB_21rocsparse_index_base_22rocsparse_matrix_type_20rocsparse_fill_mode_23rocsparse_storage_mode_P22rocsparse_data_status_.num_named_barrier, 0
	.set _ZN9rocsparseL23check_matrix_csr_deviceILj256ELj32E21rocsparse_complex_numIfEiiEEvT3_S3_T2_PKT1_PKS4_PKS3_SB_21rocsparse_index_base_22rocsparse_matrix_type_20rocsparse_fill_mode_23rocsparse_storage_mode_P22rocsparse_data_status_.private_seg_size, 0
	.set _ZN9rocsparseL23check_matrix_csr_deviceILj256ELj32E21rocsparse_complex_numIfEiiEEvT3_S3_T2_PKT1_PKS4_PKS3_SB_21rocsparse_index_base_22rocsparse_matrix_type_20rocsparse_fill_mode_23rocsparse_storage_mode_P22rocsparse_data_status_.uses_vcc, 1
	.set _ZN9rocsparseL23check_matrix_csr_deviceILj256ELj32E21rocsparse_complex_numIfEiiEEvT3_S3_T2_PKT1_PKS4_PKS3_SB_21rocsparse_index_base_22rocsparse_matrix_type_20rocsparse_fill_mode_23rocsparse_storage_mode_P22rocsparse_data_status_.uses_flat_scratch, 0
	.set _ZN9rocsparseL23check_matrix_csr_deviceILj256ELj32E21rocsparse_complex_numIfEiiEEvT3_S3_T2_PKT1_PKS4_PKS3_SB_21rocsparse_index_base_22rocsparse_matrix_type_20rocsparse_fill_mode_23rocsparse_storage_mode_P22rocsparse_data_status_.has_dyn_sized_stack, 0
	.set _ZN9rocsparseL23check_matrix_csr_deviceILj256ELj32E21rocsparse_complex_numIfEiiEEvT3_S3_T2_PKT1_PKS4_PKS3_SB_21rocsparse_index_base_22rocsparse_matrix_type_20rocsparse_fill_mode_23rocsparse_storage_mode_P22rocsparse_data_status_.has_recursion, 0
	.set _ZN9rocsparseL23check_matrix_csr_deviceILj256ELj32E21rocsparse_complex_numIfEiiEEvT3_S3_T2_PKT1_PKS4_PKS3_SB_21rocsparse_index_base_22rocsparse_matrix_type_20rocsparse_fill_mode_23rocsparse_storage_mode_P22rocsparse_data_status_.has_indirect_call, 0
	.section	.AMDGPU.csdata,"",@progbits
; Kernel info:
; codeLenInByte = 868
; TotalNumSgprs: 54
; NumVgprs: 14
; ScratchSize: 0
; MemoryBound: 0
; FloatMode: 240
; IeeeMode: 1
; LDSByteSize: 0 bytes/workgroup (compile time only)
; SGPRBlocks: 6
; VGPRBlocks: 3
; NumSGPRsForWavesPerEU: 54
; NumVGPRsForWavesPerEU: 14
; Occupancy: 10
; WaveLimiterHint : 0
; COMPUTE_PGM_RSRC2:SCRATCH_EN: 0
; COMPUTE_PGM_RSRC2:USER_SGPR: 6
; COMPUTE_PGM_RSRC2:TRAP_HANDLER: 0
; COMPUTE_PGM_RSRC2:TGID_X_EN: 1
; COMPUTE_PGM_RSRC2:TGID_Y_EN: 0
; COMPUTE_PGM_RSRC2:TGID_Z_EN: 0
; COMPUTE_PGM_RSRC2:TIDIG_COMP_CNT: 0
	.section	.text._ZN9rocsparseL23check_matrix_csr_deviceILj256ELj64E21rocsparse_complex_numIfEiiEEvT3_S3_T2_PKT1_PKS4_PKS3_SB_21rocsparse_index_base_22rocsparse_matrix_type_20rocsparse_fill_mode_23rocsparse_storage_mode_P22rocsparse_data_status_,"axG",@progbits,_ZN9rocsparseL23check_matrix_csr_deviceILj256ELj64E21rocsparse_complex_numIfEiiEEvT3_S3_T2_PKT1_PKS4_PKS3_SB_21rocsparse_index_base_22rocsparse_matrix_type_20rocsparse_fill_mode_23rocsparse_storage_mode_P22rocsparse_data_status_,comdat
	.globl	_ZN9rocsparseL23check_matrix_csr_deviceILj256ELj64E21rocsparse_complex_numIfEiiEEvT3_S3_T2_PKT1_PKS4_PKS3_SB_21rocsparse_index_base_22rocsparse_matrix_type_20rocsparse_fill_mode_23rocsparse_storage_mode_P22rocsparse_data_status_ ; -- Begin function _ZN9rocsparseL23check_matrix_csr_deviceILj256ELj64E21rocsparse_complex_numIfEiiEEvT3_S3_T2_PKT1_PKS4_PKS3_SB_21rocsparse_index_base_22rocsparse_matrix_type_20rocsparse_fill_mode_23rocsparse_storage_mode_P22rocsparse_data_status_
	.p2align	8
	.type	_ZN9rocsparseL23check_matrix_csr_deviceILj256ELj64E21rocsparse_complex_numIfEiiEEvT3_S3_T2_PKT1_PKS4_PKS3_SB_21rocsparse_index_base_22rocsparse_matrix_type_20rocsparse_fill_mode_23rocsparse_storage_mode_P22rocsparse_data_status_,@function
_ZN9rocsparseL23check_matrix_csr_deviceILj256ELj64E21rocsparse_complex_numIfEiiEEvT3_S3_T2_PKT1_PKS4_PKS3_SB_21rocsparse_index_base_22rocsparse_matrix_type_20rocsparse_fill_mode_23rocsparse_storage_mode_P22rocsparse_data_status_: ; @_ZN9rocsparseL23check_matrix_csr_deviceILj256ELj64E21rocsparse_complex_numIfEiiEEvT3_S3_T2_PKT1_PKS4_PKS3_SB_21rocsparse_index_base_22rocsparse_matrix_type_20rocsparse_fill_mode_23rocsparse_storage_mode_P22rocsparse_data_status_
; %bb.0:
	s_load_dwordx2 s[16:17], s[4:5], 0x0
	v_lshl_or_b32 v1, s6, 8, v0
	v_lshrrev_b32_e32 v6, 6, v1
	s_waitcnt lgkmcnt(0)
	v_cmp_gt_i32_e32 vcc, s16, v6
	s_and_saveexec_b64 s[0:1], vcc
	s_cbranch_execz .LBB20_31
; %bb.1:
	s_load_dwordx2 s[0:1], s[4:5], 0x18
	v_lshlrev_b32_e32 v1, 2, v6
	s_mov_b64 s[8:9], -1
	v_mov_b32_e32 v10, 3
	s_waitcnt lgkmcnt(0)
	global_load_dwordx2 v[1:2], v1, s[0:1]
	s_load_dword s0, s[0:1], 0x0
	s_waitcnt vmcnt(0) lgkmcnt(0)
	v_subrev_u32_e32 v8, s0, v2
	v_cmp_lt_i32_e32 vcc, v2, v1
	v_cmp_gt_i32_e64 s[2:3], 0, v8
	v_subrev_u32_e32 v7, s0, v1
	s_or_b64 s[2:3], s[2:3], vcc
	v_cmp_lt_i32_e64 s[0:1], -1, v7
	s_xor_b64 s[2:3], s[2:3], -1
	s_and_b64 s[0:1], s[0:1], s[2:3]
	s_and_saveexec_b64 s[6:7], s[0:1]
	s_cbranch_execz .LBB20_29
; %bb.2:
	v_and_b32_e32 v0, 63, v0
	v_add_u32_e32 v0, v7, v0
	v_cmp_lt_u32_e32 vcc, v0, v8
	s_mov_b64 s[0:1], 0
	v_mov_b32_e32 v10, 3
	s_and_saveexec_b64 s[18:19], vcc
	s_cbranch_execz .LBB20_28
; %bb.3:
	s_load_dwordx8 s[8:15], s[4:5], 0x20
	s_load_dwordx2 s[20:21], s[4:5], 0x10
	s_mov_b64 s[22:23], 0
                                        ; implicit-def: $sgpr28_sgpr29
                                        ; implicit-def: $sgpr30_sgpr31
                                        ; implicit-def: $sgpr34_sgpr35
	s_waitcnt lgkmcnt(0)
	s_cmp_lg_u32 s13, 0
	s_cselect_b64 s[24:25], -1, 0
	s_cmp_lg_u32 s14, 0
	s_cselect_b64 s[26:27], -1, 0
	;; [unrolled: 2-line block ×3, first 2 shown]
	v_mov_b32_e32 v9, s9
	s_mov_b32 s9, 0x7f800000
	s_branch .LBB20_10
.LBB20_4:                               ;   in Loop: Header=BB20_10 Depth=1
	s_or_b64 exec, exec, s[48:49]
	s_orn2_b64 s[48:49], s[2:3], exec
	s_orn2_b64 s[0:1], s[42:43], exec
.LBB20_5:                               ;   in Loop: Header=BB20_10 Depth=1
	s_or_b64 exec, exec, s[46:47]
	s_orn2_b64 s[2:3], s[48:49], exec
	s_orn2_b64 s[0:1], s[0:1], exec
.LBB20_6:                               ;   in Loop: Header=BB20_10 Depth=1
	s_or_b64 exec, exec, s[44:45]
	s_orn2_b64 s[44:45], s[2:3], exec
	s_orn2_b64 s[2:3], s[0:1], exec
.LBB20_7:                               ;   in Loop: Header=BB20_10 Depth=1
	s_or_b64 exec, exec, s[40:41]
	s_orn2_b64 s[40:41], s[44:45], exec
	s_orn2_b64 s[0:1], s[2:3], exec
.LBB20_8:                               ;   in Loop: Header=BB20_10 Depth=1
	s_or_b64 exec, exec, s[38:39]
	s_andn2_b64 s[2:3], s[34:35], exec
	s_and_b64 s[34:35], s[40:41], exec
	s_or_b64 s[34:35], s[2:3], s[34:35]
	s_andn2_b64 s[2:3], s[30:31], exec
	s_and_b64 s[0:1], s[0:1], exec
	s_or_b64 s[30:31], s[2:3], s[0:1]
.LBB20_9:                               ;   in Loop: Header=BB20_10 Depth=1
	s_or_b64 exec, exec, s[36:37]
	s_and_b64 s[0:1], exec, s[30:31]
	s_or_b64 s[22:23], s[0:1], s[22:23]
	s_andn2_b64 s[0:1], s[28:29], exec
	s_and_b64 s[2:3], s[34:35], exec
	s_or_b64 s[28:29], s[0:1], s[2:3]
	s_andn2_b64 exec, exec, s[22:23]
	s_cbranch_execz .LBB20_27
.LBB20_10:                              ; =>This Inner Loop Header: Depth=1
	v_ashrrev_i32_e32 v1, 31, v0
	v_lshlrev_b64 v[4:5], 2, v[0:1]
	v_mov_b32_e32 v10, 4
	v_add_co_u32_e32 v2, vcc, s8, v4
	v_addc_co_u32_e32 v3, vcc, v9, v5, vcc
	global_load_dword v11, v[2:3], off
	s_or_b64 s[34:35], s[34:35], exec
	s_or_b64 s[30:31], s[30:31], exec
	s_waitcnt vmcnt(0)
	v_subrev_u32_e32 v12, s12, v11
	v_cmp_lt_i32_e32 vcc, -1, v12
	v_cmp_gt_i32_e64 s[0:1], s17, v12
	s_and_b64 s[0:1], vcc, s[0:1]
	s_and_saveexec_b64 s[36:37], s[0:1]
	s_cbranch_execz .LBB20_9
; %bb.11:                               ;   in Loop: Header=BB20_10 Depth=1
	v_cmp_le_i32_e64 s[42:43], v0, v7
	v_cmp_gt_i32_e32 vcc, v0, v7
	v_mov_b32_e32 v10, 4
	s_mov_b64 s[2:3], s[42:43]
	s_and_saveexec_b64 s[38:39], vcc
	s_cbranch_execz .LBB20_13
; %bb.12:                               ;   in Loop: Header=BB20_10 Depth=1
	v_mov_b32_e32 v10, s11
	v_add_co_u32_e32 v4, vcc, s10, v4
	v_addc_co_u32_e32 v5, vcc, v10, v5, vcc
	global_load_dwordx2 v[4:5], v[4:5], off offset:-4
	v_mov_b32_e32 v10, 5
	s_waitcnt vmcnt(0)
	v_subrev_u32_e32 v13, s12, v4
	v_cmp_lt_i32_e64 s[0:1], -1, v13
	v_cmp_gt_i32_e64 s[2:3], s17, v13
	s_and_b64 s[0:1], s[0:1], s[2:3]
	v_cmp_ne_u32_e32 vcc, v5, v4
	s_xor_b64 s[0:1], s[0:1], -1
	s_or_b64 s[0:1], vcc, s[0:1]
	s_andn2_b64 s[2:3], s[42:43], exec
	s_and_b64 s[0:1], s[0:1], exec
	s_or_b64 s[2:3], s[2:3], s[0:1]
.LBB20_13:                              ;   in Loop: Header=BB20_10 Depth=1
	s_or_b64 exec, exec, s[38:39]
	s_mov_b64 s[0:1], -1
	s_mov_b64 s[40:41], -1
	s_and_saveexec_b64 s[38:39], s[2:3]
	s_cbranch_execz .LBB20_8
; %bb.14:                               ;   in Loop: Header=BB20_10 Depth=1
	v_lshlrev_b64 v[4:5], 3, v[0:1]
	v_mov_b32_e32 v1, s21
	v_add_co_u32_e32 v4, vcc, s20, v4
	v_addc_co_u32_e32 v5, vcc, v1, v5, vcc
	global_load_dwordx2 v[4:5], v[4:5], off
	v_mov_b32_e32 v10, 1
	s_mov_b64 s[2:3], -1
	s_mov_b64 s[44:45], -1
	s_waitcnt vmcnt(0)
	v_cmp_neq_f32_e32 vcc, s9, v4
	v_cmp_neq_f32_e64 s[0:1], s9, v5
	s_and_b64 s[0:1], vcc, s[0:1]
	s_and_saveexec_b64 s[40:41], s[0:1]
	s_cbranch_execz .LBB20_7
; %bb.15:                               ;   in Loop: Header=BB20_10 Depth=1
	v_cmp_o_f32_e32 vcc, v4, v5
	v_mov_b32_e32 v10, 2
	s_mov_b64 s[0:1], -1
	s_and_saveexec_b64 s[44:45], vcc
	s_cbranch_execz .LBB20_6
; %bb.16:                               ;   in Loop: Header=BB20_10 Depth=1
	s_and_b64 vcc, exec, s[24:25]
	s_cbranch_vccz .LBB20_19
; %bb.17:                               ;   in Loop: Header=BB20_10 Depth=1
	s_and_b64 vcc, exec, s[26:27]
	s_cbranch_vccz .LBB20_20
; %bb.18:                               ;   in Loop: Header=BB20_10 Depth=1
	v_cmp_le_i32_e32 vcc, v6, v12
	s_mov_b32 s13, 7
	s_and_b64 s[2:3], vcc, exec
	s_cbranch_execz .LBB20_21
	s_branch .LBB20_22
.LBB20_19:                              ;   in Loop: Header=BB20_10 Depth=1
	s_mov_b32 s13, 2
	s_branch .LBB20_22
.LBB20_20:                              ;   in Loop: Header=BB20_10 Depth=1
	s_mov_b64 s[2:3], 0
	s_mov_b32 s13, 2
.LBB20_21:                              ;   in Loop: Header=BB20_10 Depth=1
	v_cmp_ge_i32_e32 vcc, v6, v12
	s_andn2_b64 s[2:3], s[2:3], exec
	s_and_b64 s[46:47], vcc, exec
	s_mov_b32 s13, 7
	s_or_b64 s[2:3], s[2:3], s[46:47]
.LBB20_22:                              ;   in Loop: Header=BB20_10 Depth=1
	v_mov_b32_e32 v10, s13
	s_mov_b64 s[48:49], -1
	s_and_saveexec_b64 s[46:47], s[2:3]
	s_cbranch_execz .LBB20_5
; %bb.23:                               ;   in Loop: Header=BB20_10 Depth=1
	s_nor_b64 s[2:3], s[14:15], s[42:43]
	s_mov_b64 s[42:43], -1
	v_mov_b32_e32 v10, s13
	s_and_saveexec_b64 s[48:49], s[2:3]
	s_cbranch_execz .LBB20_25
; %bb.24:                               ;   in Loop: Header=BB20_10 Depth=1
	global_load_dword v1, v[2:3], off offset:-4
	v_mov_b32_e32 v10, 6
	s_waitcnt vmcnt(0)
	v_subrev_u32_e32 v2, s12, v1
	v_cmp_lt_i32_e64 s[0:1], -1, v2
	v_cmp_gt_i32_e64 s[2:3], s17, v2
	s_and_b64 s[0:1], s[0:1], s[2:3]
	v_cmp_gt_i32_e32 vcc, v11, v1
	s_xor_b64 s[0:1], s[0:1], -1
	s_or_b64 s[0:1], vcc, s[0:1]
	s_orn2_b64 s[0:1], s[0:1], exec
.LBB20_25:                              ;   in Loop: Header=BB20_10 Depth=1
	s_or_b64 exec, exec, s[48:49]
	s_mov_b64 s[2:3], -1
	s_and_saveexec_b64 s[48:49], s[0:1]
	s_cbranch_execz .LBB20_4
; %bb.26:                               ;   in Loop: Header=BB20_10 Depth=1
	v_add_u32_e32 v0, 64, v0
	v_cmp_ge_i32_e32 vcc, v0, v8
	s_xor_b64 s[2:3], exec, -1
	s_orn2_b64 s[42:43], vcc, exec
	s_branch .LBB20_4
.LBB20_27:
	s_or_b64 exec, exec, s[22:23]
	s_and_b64 s[0:1], s[28:29], exec
.LBB20_28:
	s_or_b64 exec, exec, s[18:19]
	s_orn2_b64 s[8:9], s[0:1], exec
.LBB20_29:
	s_or_b64 exec, exec, s[6:7]
	s_and_b64 exec, exec, s[8:9]
	s_cbranch_execz .LBB20_31
; %bb.30:
	s_load_dwordx2 s[0:1], s[4:5], 0x40
	v_mov_b32_e32 v0, 0
	s_waitcnt lgkmcnt(0)
	global_store_dword v0, v10, s[0:1]
.LBB20_31:
	s_endpgm
	.section	.rodata,"a",@progbits
	.p2align	6, 0x0
	.amdhsa_kernel _ZN9rocsparseL23check_matrix_csr_deviceILj256ELj64E21rocsparse_complex_numIfEiiEEvT3_S3_T2_PKT1_PKS4_PKS3_SB_21rocsparse_index_base_22rocsparse_matrix_type_20rocsparse_fill_mode_23rocsparse_storage_mode_P22rocsparse_data_status_
		.amdhsa_group_segment_fixed_size 0
		.amdhsa_private_segment_fixed_size 0
		.amdhsa_kernarg_size 72
		.amdhsa_user_sgpr_count 6
		.amdhsa_user_sgpr_private_segment_buffer 1
		.amdhsa_user_sgpr_dispatch_ptr 0
		.amdhsa_user_sgpr_queue_ptr 0
		.amdhsa_user_sgpr_kernarg_segment_ptr 1
		.amdhsa_user_sgpr_dispatch_id 0
		.amdhsa_user_sgpr_flat_scratch_init 0
		.amdhsa_user_sgpr_private_segment_size 0
		.amdhsa_uses_dynamic_stack 0
		.amdhsa_system_sgpr_private_segment_wavefront_offset 0
		.amdhsa_system_sgpr_workgroup_id_x 1
		.amdhsa_system_sgpr_workgroup_id_y 0
		.amdhsa_system_sgpr_workgroup_id_z 0
		.amdhsa_system_sgpr_workgroup_info 0
		.amdhsa_system_vgpr_workitem_id 0
		.amdhsa_next_free_vgpr 14
		.amdhsa_next_free_sgpr 50
		.amdhsa_reserve_vcc 1
		.amdhsa_reserve_flat_scratch 0
		.amdhsa_float_round_mode_32 0
		.amdhsa_float_round_mode_16_64 0
		.amdhsa_float_denorm_mode_32 3
		.amdhsa_float_denorm_mode_16_64 3
		.amdhsa_dx10_clamp 1
		.amdhsa_ieee_mode 1
		.amdhsa_fp16_overflow 0
		.amdhsa_exception_fp_ieee_invalid_op 0
		.amdhsa_exception_fp_denorm_src 0
		.amdhsa_exception_fp_ieee_div_zero 0
		.amdhsa_exception_fp_ieee_overflow 0
		.amdhsa_exception_fp_ieee_underflow 0
		.amdhsa_exception_fp_ieee_inexact 0
		.amdhsa_exception_int_div_zero 0
	.end_amdhsa_kernel
	.section	.text._ZN9rocsparseL23check_matrix_csr_deviceILj256ELj64E21rocsparse_complex_numIfEiiEEvT3_S3_T2_PKT1_PKS4_PKS3_SB_21rocsparse_index_base_22rocsparse_matrix_type_20rocsparse_fill_mode_23rocsparse_storage_mode_P22rocsparse_data_status_,"axG",@progbits,_ZN9rocsparseL23check_matrix_csr_deviceILj256ELj64E21rocsparse_complex_numIfEiiEEvT3_S3_T2_PKT1_PKS4_PKS3_SB_21rocsparse_index_base_22rocsparse_matrix_type_20rocsparse_fill_mode_23rocsparse_storage_mode_P22rocsparse_data_status_,comdat
.Lfunc_end20:
	.size	_ZN9rocsparseL23check_matrix_csr_deviceILj256ELj64E21rocsparse_complex_numIfEiiEEvT3_S3_T2_PKT1_PKS4_PKS3_SB_21rocsparse_index_base_22rocsparse_matrix_type_20rocsparse_fill_mode_23rocsparse_storage_mode_P22rocsparse_data_status_, .Lfunc_end20-_ZN9rocsparseL23check_matrix_csr_deviceILj256ELj64E21rocsparse_complex_numIfEiiEEvT3_S3_T2_PKT1_PKS4_PKS3_SB_21rocsparse_index_base_22rocsparse_matrix_type_20rocsparse_fill_mode_23rocsparse_storage_mode_P22rocsparse_data_status_
                                        ; -- End function
	.set _ZN9rocsparseL23check_matrix_csr_deviceILj256ELj64E21rocsparse_complex_numIfEiiEEvT3_S3_T2_PKT1_PKS4_PKS3_SB_21rocsparse_index_base_22rocsparse_matrix_type_20rocsparse_fill_mode_23rocsparse_storage_mode_P22rocsparse_data_status_.num_vgpr, 14
	.set _ZN9rocsparseL23check_matrix_csr_deviceILj256ELj64E21rocsparse_complex_numIfEiiEEvT3_S3_T2_PKT1_PKS4_PKS3_SB_21rocsparse_index_base_22rocsparse_matrix_type_20rocsparse_fill_mode_23rocsparse_storage_mode_P22rocsparse_data_status_.num_agpr, 0
	.set _ZN9rocsparseL23check_matrix_csr_deviceILj256ELj64E21rocsparse_complex_numIfEiiEEvT3_S3_T2_PKT1_PKS4_PKS3_SB_21rocsparse_index_base_22rocsparse_matrix_type_20rocsparse_fill_mode_23rocsparse_storage_mode_P22rocsparse_data_status_.numbered_sgpr, 50
	.set _ZN9rocsparseL23check_matrix_csr_deviceILj256ELj64E21rocsparse_complex_numIfEiiEEvT3_S3_T2_PKT1_PKS4_PKS3_SB_21rocsparse_index_base_22rocsparse_matrix_type_20rocsparse_fill_mode_23rocsparse_storage_mode_P22rocsparse_data_status_.num_named_barrier, 0
	.set _ZN9rocsparseL23check_matrix_csr_deviceILj256ELj64E21rocsparse_complex_numIfEiiEEvT3_S3_T2_PKT1_PKS4_PKS3_SB_21rocsparse_index_base_22rocsparse_matrix_type_20rocsparse_fill_mode_23rocsparse_storage_mode_P22rocsparse_data_status_.private_seg_size, 0
	.set _ZN9rocsparseL23check_matrix_csr_deviceILj256ELj64E21rocsparse_complex_numIfEiiEEvT3_S3_T2_PKT1_PKS4_PKS3_SB_21rocsparse_index_base_22rocsparse_matrix_type_20rocsparse_fill_mode_23rocsparse_storage_mode_P22rocsparse_data_status_.uses_vcc, 1
	.set _ZN9rocsparseL23check_matrix_csr_deviceILj256ELj64E21rocsparse_complex_numIfEiiEEvT3_S3_T2_PKT1_PKS4_PKS3_SB_21rocsparse_index_base_22rocsparse_matrix_type_20rocsparse_fill_mode_23rocsparse_storage_mode_P22rocsparse_data_status_.uses_flat_scratch, 0
	.set _ZN9rocsparseL23check_matrix_csr_deviceILj256ELj64E21rocsparse_complex_numIfEiiEEvT3_S3_T2_PKT1_PKS4_PKS3_SB_21rocsparse_index_base_22rocsparse_matrix_type_20rocsparse_fill_mode_23rocsparse_storage_mode_P22rocsparse_data_status_.has_dyn_sized_stack, 0
	.set _ZN9rocsparseL23check_matrix_csr_deviceILj256ELj64E21rocsparse_complex_numIfEiiEEvT3_S3_T2_PKT1_PKS4_PKS3_SB_21rocsparse_index_base_22rocsparse_matrix_type_20rocsparse_fill_mode_23rocsparse_storage_mode_P22rocsparse_data_status_.has_recursion, 0
	.set _ZN9rocsparseL23check_matrix_csr_deviceILj256ELj64E21rocsparse_complex_numIfEiiEEvT3_S3_T2_PKT1_PKS4_PKS3_SB_21rocsparse_index_base_22rocsparse_matrix_type_20rocsparse_fill_mode_23rocsparse_storage_mode_P22rocsparse_data_status_.has_indirect_call, 0
	.section	.AMDGPU.csdata,"",@progbits
; Kernel info:
; codeLenInByte = 868
; TotalNumSgprs: 54
; NumVgprs: 14
; ScratchSize: 0
; MemoryBound: 0
; FloatMode: 240
; IeeeMode: 1
; LDSByteSize: 0 bytes/workgroup (compile time only)
; SGPRBlocks: 6
; VGPRBlocks: 3
; NumSGPRsForWavesPerEU: 54
; NumVGPRsForWavesPerEU: 14
; Occupancy: 10
; WaveLimiterHint : 0
; COMPUTE_PGM_RSRC2:SCRATCH_EN: 0
; COMPUTE_PGM_RSRC2:USER_SGPR: 6
; COMPUTE_PGM_RSRC2:TRAP_HANDLER: 0
; COMPUTE_PGM_RSRC2:TGID_X_EN: 1
; COMPUTE_PGM_RSRC2:TGID_Y_EN: 0
; COMPUTE_PGM_RSRC2:TGID_Z_EN: 0
; COMPUTE_PGM_RSRC2:TIDIG_COMP_CNT: 0
	.section	.text._ZN9rocsparseL23check_matrix_csr_deviceILj256ELj128E21rocsparse_complex_numIfEiiEEvT3_S3_T2_PKT1_PKS4_PKS3_SB_21rocsparse_index_base_22rocsparse_matrix_type_20rocsparse_fill_mode_23rocsparse_storage_mode_P22rocsparse_data_status_,"axG",@progbits,_ZN9rocsparseL23check_matrix_csr_deviceILj256ELj128E21rocsparse_complex_numIfEiiEEvT3_S3_T2_PKT1_PKS4_PKS3_SB_21rocsparse_index_base_22rocsparse_matrix_type_20rocsparse_fill_mode_23rocsparse_storage_mode_P22rocsparse_data_status_,comdat
	.globl	_ZN9rocsparseL23check_matrix_csr_deviceILj256ELj128E21rocsparse_complex_numIfEiiEEvT3_S3_T2_PKT1_PKS4_PKS3_SB_21rocsparse_index_base_22rocsparse_matrix_type_20rocsparse_fill_mode_23rocsparse_storage_mode_P22rocsparse_data_status_ ; -- Begin function _ZN9rocsparseL23check_matrix_csr_deviceILj256ELj128E21rocsparse_complex_numIfEiiEEvT3_S3_T2_PKT1_PKS4_PKS3_SB_21rocsparse_index_base_22rocsparse_matrix_type_20rocsparse_fill_mode_23rocsparse_storage_mode_P22rocsparse_data_status_
	.p2align	8
	.type	_ZN9rocsparseL23check_matrix_csr_deviceILj256ELj128E21rocsparse_complex_numIfEiiEEvT3_S3_T2_PKT1_PKS4_PKS3_SB_21rocsparse_index_base_22rocsparse_matrix_type_20rocsparse_fill_mode_23rocsparse_storage_mode_P22rocsparse_data_status_,@function
_ZN9rocsparseL23check_matrix_csr_deviceILj256ELj128E21rocsparse_complex_numIfEiiEEvT3_S3_T2_PKT1_PKS4_PKS3_SB_21rocsparse_index_base_22rocsparse_matrix_type_20rocsparse_fill_mode_23rocsparse_storage_mode_P22rocsparse_data_status_: ; @_ZN9rocsparseL23check_matrix_csr_deviceILj256ELj128E21rocsparse_complex_numIfEiiEEvT3_S3_T2_PKT1_PKS4_PKS3_SB_21rocsparse_index_base_22rocsparse_matrix_type_20rocsparse_fill_mode_23rocsparse_storage_mode_P22rocsparse_data_status_
; %bb.0:
	s_load_dwordx2 s[16:17], s[4:5], 0x0
	v_lshl_or_b32 v1, s6, 8, v0
	v_lshrrev_b32_e32 v6, 7, v1
	s_waitcnt lgkmcnt(0)
	v_cmp_gt_i32_e32 vcc, s16, v6
	s_and_saveexec_b64 s[0:1], vcc
	s_cbranch_execz .LBB21_31
; %bb.1:
	s_load_dwordx2 s[0:1], s[4:5], 0x18
	v_lshlrev_b32_e32 v1, 2, v6
	s_mov_b64 s[8:9], -1
	v_mov_b32_e32 v10, 3
	s_waitcnt lgkmcnt(0)
	global_load_dwordx2 v[1:2], v1, s[0:1]
	s_load_dword s0, s[0:1], 0x0
	s_waitcnt vmcnt(0) lgkmcnt(0)
	v_subrev_u32_e32 v8, s0, v2
	v_cmp_lt_i32_e32 vcc, v2, v1
	v_cmp_gt_i32_e64 s[2:3], 0, v8
	v_subrev_u32_e32 v7, s0, v1
	s_or_b64 s[2:3], s[2:3], vcc
	v_cmp_lt_i32_e64 s[0:1], -1, v7
	s_xor_b64 s[2:3], s[2:3], -1
	s_and_b64 s[0:1], s[0:1], s[2:3]
	s_and_saveexec_b64 s[6:7], s[0:1]
	s_cbranch_execz .LBB21_29
; %bb.2:
	v_and_b32_e32 v0, 0x7f, v0
	v_add_u32_e32 v0, v7, v0
	v_cmp_lt_u32_e32 vcc, v0, v8
	s_mov_b64 s[0:1], 0
	v_mov_b32_e32 v10, 3
	s_and_saveexec_b64 s[18:19], vcc
	s_cbranch_execz .LBB21_28
; %bb.3:
	s_load_dwordx8 s[8:15], s[4:5], 0x20
	s_load_dwordx2 s[20:21], s[4:5], 0x10
	s_mov_b64 s[22:23], 0
                                        ; implicit-def: $sgpr28_sgpr29
                                        ; implicit-def: $sgpr30_sgpr31
                                        ; implicit-def: $sgpr34_sgpr35
	s_waitcnt lgkmcnt(0)
	s_cmp_lg_u32 s13, 0
	s_cselect_b64 s[24:25], -1, 0
	s_cmp_lg_u32 s14, 0
	s_cselect_b64 s[26:27], -1, 0
	;; [unrolled: 2-line block ×3, first 2 shown]
	v_mov_b32_e32 v9, s9
	s_mov_b32 s9, 0x7f800000
	s_branch .LBB21_10
.LBB21_4:                               ;   in Loop: Header=BB21_10 Depth=1
	s_or_b64 exec, exec, s[48:49]
	s_orn2_b64 s[48:49], s[2:3], exec
	s_orn2_b64 s[0:1], s[42:43], exec
.LBB21_5:                               ;   in Loop: Header=BB21_10 Depth=1
	s_or_b64 exec, exec, s[46:47]
	s_orn2_b64 s[2:3], s[48:49], exec
	s_orn2_b64 s[0:1], s[0:1], exec
.LBB21_6:                               ;   in Loop: Header=BB21_10 Depth=1
	s_or_b64 exec, exec, s[44:45]
	s_orn2_b64 s[44:45], s[2:3], exec
	s_orn2_b64 s[2:3], s[0:1], exec
.LBB21_7:                               ;   in Loop: Header=BB21_10 Depth=1
	s_or_b64 exec, exec, s[40:41]
	s_orn2_b64 s[40:41], s[44:45], exec
	s_orn2_b64 s[0:1], s[2:3], exec
.LBB21_8:                               ;   in Loop: Header=BB21_10 Depth=1
	s_or_b64 exec, exec, s[38:39]
	s_andn2_b64 s[2:3], s[34:35], exec
	s_and_b64 s[34:35], s[40:41], exec
	s_or_b64 s[34:35], s[2:3], s[34:35]
	s_andn2_b64 s[2:3], s[30:31], exec
	s_and_b64 s[0:1], s[0:1], exec
	s_or_b64 s[30:31], s[2:3], s[0:1]
.LBB21_9:                               ;   in Loop: Header=BB21_10 Depth=1
	s_or_b64 exec, exec, s[36:37]
	s_and_b64 s[0:1], exec, s[30:31]
	s_or_b64 s[22:23], s[0:1], s[22:23]
	s_andn2_b64 s[0:1], s[28:29], exec
	s_and_b64 s[2:3], s[34:35], exec
	s_or_b64 s[28:29], s[0:1], s[2:3]
	s_andn2_b64 exec, exec, s[22:23]
	s_cbranch_execz .LBB21_27
.LBB21_10:                              ; =>This Inner Loop Header: Depth=1
	v_ashrrev_i32_e32 v1, 31, v0
	v_lshlrev_b64 v[4:5], 2, v[0:1]
	v_mov_b32_e32 v10, 4
	v_add_co_u32_e32 v2, vcc, s8, v4
	v_addc_co_u32_e32 v3, vcc, v9, v5, vcc
	global_load_dword v11, v[2:3], off
	s_or_b64 s[34:35], s[34:35], exec
	s_or_b64 s[30:31], s[30:31], exec
	s_waitcnt vmcnt(0)
	v_subrev_u32_e32 v12, s12, v11
	v_cmp_lt_i32_e32 vcc, -1, v12
	v_cmp_gt_i32_e64 s[0:1], s17, v12
	s_and_b64 s[0:1], vcc, s[0:1]
	s_and_saveexec_b64 s[36:37], s[0:1]
	s_cbranch_execz .LBB21_9
; %bb.11:                               ;   in Loop: Header=BB21_10 Depth=1
	v_cmp_le_i32_e64 s[42:43], v0, v7
	v_cmp_gt_i32_e32 vcc, v0, v7
	v_mov_b32_e32 v10, 4
	s_mov_b64 s[2:3], s[42:43]
	s_and_saveexec_b64 s[38:39], vcc
	s_cbranch_execz .LBB21_13
; %bb.12:                               ;   in Loop: Header=BB21_10 Depth=1
	v_mov_b32_e32 v10, s11
	v_add_co_u32_e32 v4, vcc, s10, v4
	v_addc_co_u32_e32 v5, vcc, v10, v5, vcc
	global_load_dwordx2 v[4:5], v[4:5], off offset:-4
	v_mov_b32_e32 v10, 5
	s_waitcnt vmcnt(0)
	v_subrev_u32_e32 v13, s12, v4
	v_cmp_lt_i32_e64 s[0:1], -1, v13
	v_cmp_gt_i32_e64 s[2:3], s17, v13
	s_and_b64 s[0:1], s[0:1], s[2:3]
	v_cmp_ne_u32_e32 vcc, v5, v4
	s_xor_b64 s[0:1], s[0:1], -1
	s_or_b64 s[0:1], vcc, s[0:1]
	s_andn2_b64 s[2:3], s[42:43], exec
	s_and_b64 s[0:1], s[0:1], exec
	s_or_b64 s[2:3], s[2:3], s[0:1]
.LBB21_13:                              ;   in Loop: Header=BB21_10 Depth=1
	s_or_b64 exec, exec, s[38:39]
	s_mov_b64 s[0:1], -1
	s_mov_b64 s[40:41], -1
	s_and_saveexec_b64 s[38:39], s[2:3]
	s_cbranch_execz .LBB21_8
; %bb.14:                               ;   in Loop: Header=BB21_10 Depth=1
	v_lshlrev_b64 v[4:5], 3, v[0:1]
	v_mov_b32_e32 v1, s21
	v_add_co_u32_e32 v4, vcc, s20, v4
	v_addc_co_u32_e32 v5, vcc, v1, v5, vcc
	global_load_dwordx2 v[4:5], v[4:5], off
	v_mov_b32_e32 v10, 1
	s_mov_b64 s[2:3], -1
	s_mov_b64 s[44:45], -1
	s_waitcnt vmcnt(0)
	v_cmp_neq_f32_e32 vcc, s9, v4
	v_cmp_neq_f32_e64 s[0:1], s9, v5
	s_and_b64 s[0:1], vcc, s[0:1]
	s_and_saveexec_b64 s[40:41], s[0:1]
	s_cbranch_execz .LBB21_7
; %bb.15:                               ;   in Loop: Header=BB21_10 Depth=1
	v_cmp_o_f32_e32 vcc, v4, v5
	v_mov_b32_e32 v10, 2
	s_mov_b64 s[0:1], -1
	s_and_saveexec_b64 s[44:45], vcc
	s_cbranch_execz .LBB21_6
; %bb.16:                               ;   in Loop: Header=BB21_10 Depth=1
	s_and_b64 vcc, exec, s[24:25]
	s_cbranch_vccz .LBB21_19
; %bb.17:                               ;   in Loop: Header=BB21_10 Depth=1
	s_and_b64 vcc, exec, s[26:27]
	s_cbranch_vccz .LBB21_20
; %bb.18:                               ;   in Loop: Header=BB21_10 Depth=1
	v_cmp_le_i32_e32 vcc, v6, v12
	s_mov_b32 s13, 7
	s_and_b64 s[2:3], vcc, exec
	s_cbranch_execz .LBB21_21
	s_branch .LBB21_22
.LBB21_19:                              ;   in Loop: Header=BB21_10 Depth=1
	s_mov_b32 s13, 2
	s_branch .LBB21_22
.LBB21_20:                              ;   in Loop: Header=BB21_10 Depth=1
	s_mov_b64 s[2:3], 0
	s_mov_b32 s13, 2
.LBB21_21:                              ;   in Loop: Header=BB21_10 Depth=1
	v_cmp_ge_i32_e32 vcc, v6, v12
	s_andn2_b64 s[2:3], s[2:3], exec
	s_and_b64 s[46:47], vcc, exec
	s_mov_b32 s13, 7
	s_or_b64 s[2:3], s[2:3], s[46:47]
.LBB21_22:                              ;   in Loop: Header=BB21_10 Depth=1
	v_mov_b32_e32 v10, s13
	s_mov_b64 s[48:49], -1
	s_and_saveexec_b64 s[46:47], s[2:3]
	s_cbranch_execz .LBB21_5
; %bb.23:                               ;   in Loop: Header=BB21_10 Depth=1
	s_nor_b64 s[2:3], s[14:15], s[42:43]
	s_mov_b64 s[42:43], -1
	v_mov_b32_e32 v10, s13
	s_and_saveexec_b64 s[48:49], s[2:3]
	s_cbranch_execz .LBB21_25
; %bb.24:                               ;   in Loop: Header=BB21_10 Depth=1
	global_load_dword v1, v[2:3], off offset:-4
	v_mov_b32_e32 v10, 6
	s_waitcnt vmcnt(0)
	v_subrev_u32_e32 v2, s12, v1
	v_cmp_lt_i32_e64 s[0:1], -1, v2
	v_cmp_gt_i32_e64 s[2:3], s17, v2
	s_and_b64 s[0:1], s[0:1], s[2:3]
	v_cmp_gt_i32_e32 vcc, v11, v1
	s_xor_b64 s[0:1], s[0:1], -1
	s_or_b64 s[0:1], vcc, s[0:1]
	s_orn2_b64 s[0:1], s[0:1], exec
.LBB21_25:                              ;   in Loop: Header=BB21_10 Depth=1
	s_or_b64 exec, exec, s[48:49]
	s_mov_b64 s[2:3], -1
	s_and_saveexec_b64 s[48:49], s[0:1]
	s_cbranch_execz .LBB21_4
; %bb.26:                               ;   in Loop: Header=BB21_10 Depth=1
	v_add_u32_e32 v0, 0x80, v0
	v_cmp_ge_i32_e32 vcc, v0, v8
	s_xor_b64 s[2:3], exec, -1
	s_orn2_b64 s[42:43], vcc, exec
	s_branch .LBB21_4
.LBB21_27:
	s_or_b64 exec, exec, s[22:23]
	s_and_b64 s[0:1], s[28:29], exec
.LBB21_28:
	s_or_b64 exec, exec, s[18:19]
	s_orn2_b64 s[8:9], s[0:1], exec
.LBB21_29:
	s_or_b64 exec, exec, s[6:7]
	s_and_b64 exec, exec, s[8:9]
	s_cbranch_execz .LBB21_31
; %bb.30:
	s_load_dwordx2 s[0:1], s[4:5], 0x40
	v_mov_b32_e32 v0, 0
	s_waitcnt lgkmcnt(0)
	global_store_dword v0, v10, s[0:1]
.LBB21_31:
	s_endpgm
	.section	.rodata,"a",@progbits
	.p2align	6, 0x0
	.amdhsa_kernel _ZN9rocsparseL23check_matrix_csr_deviceILj256ELj128E21rocsparse_complex_numIfEiiEEvT3_S3_T2_PKT1_PKS4_PKS3_SB_21rocsparse_index_base_22rocsparse_matrix_type_20rocsparse_fill_mode_23rocsparse_storage_mode_P22rocsparse_data_status_
		.amdhsa_group_segment_fixed_size 0
		.amdhsa_private_segment_fixed_size 0
		.amdhsa_kernarg_size 72
		.amdhsa_user_sgpr_count 6
		.amdhsa_user_sgpr_private_segment_buffer 1
		.amdhsa_user_sgpr_dispatch_ptr 0
		.amdhsa_user_sgpr_queue_ptr 0
		.amdhsa_user_sgpr_kernarg_segment_ptr 1
		.amdhsa_user_sgpr_dispatch_id 0
		.amdhsa_user_sgpr_flat_scratch_init 0
		.amdhsa_user_sgpr_private_segment_size 0
		.amdhsa_uses_dynamic_stack 0
		.amdhsa_system_sgpr_private_segment_wavefront_offset 0
		.amdhsa_system_sgpr_workgroup_id_x 1
		.amdhsa_system_sgpr_workgroup_id_y 0
		.amdhsa_system_sgpr_workgroup_id_z 0
		.amdhsa_system_sgpr_workgroup_info 0
		.amdhsa_system_vgpr_workitem_id 0
		.amdhsa_next_free_vgpr 14
		.amdhsa_next_free_sgpr 50
		.amdhsa_reserve_vcc 1
		.amdhsa_reserve_flat_scratch 0
		.amdhsa_float_round_mode_32 0
		.amdhsa_float_round_mode_16_64 0
		.amdhsa_float_denorm_mode_32 3
		.amdhsa_float_denorm_mode_16_64 3
		.amdhsa_dx10_clamp 1
		.amdhsa_ieee_mode 1
		.amdhsa_fp16_overflow 0
		.amdhsa_exception_fp_ieee_invalid_op 0
		.amdhsa_exception_fp_denorm_src 0
		.amdhsa_exception_fp_ieee_div_zero 0
		.amdhsa_exception_fp_ieee_overflow 0
		.amdhsa_exception_fp_ieee_underflow 0
		.amdhsa_exception_fp_ieee_inexact 0
		.amdhsa_exception_int_div_zero 0
	.end_amdhsa_kernel
	.section	.text._ZN9rocsparseL23check_matrix_csr_deviceILj256ELj128E21rocsparse_complex_numIfEiiEEvT3_S3_T2_PKT1_PKS4_PKS3_SB_21rocsparse_index_base_22rocsparse_matrix_type_20rocsparse_fill_mode_23rocsparse_storage_mode_P22rocsparse_data_status_,"axG",@progbits,_ZN9rocsparseL23check_matrix_csr_deviceILj256ELj128E21rocsparse_complex_numIfEiiEEvT3_S3_T2_PKT1_PKS4_PKS3_SB_21rocsparse_index_base_22rocsparse_matrix_type_20rocsparse_fill_mode_23rocsparse_storage_mode_P22rocsparse_data_status_,comdat
.Lfunc_end21:
	.size	_ZN9rocsparseL23check_matrix_csr_deviceILj256ELj128E21rocsparse_complex_numIfEiiEEvT3_S3_T2_PKT1_PKS4_PKS3_SB_21rocsparse_index_base_22rocsparse_matrix_type_20rocsparse_fill_mode_23rocsparse_storage_mode_P22rocsparse_data_status_, .Lfunc_end21-_ZN9rocsparseL23check_matrix_csr_deviceILj256ELj128E21rocsparse_complex_numIfEiiEEvT3_S3_T2_PKT1_PKS4_PKS3_SB_21rocsparse_index_base_22rocsparse_matrix_type_20rocsparse_fill_mode_23rocsparse_storage_mode_P22rocsparse_data_status_
                                        ; -- End function
	.set _ZN9rocsparseL23check_matrix_csr_deviceILj256ELj128E21rocsparse_complex_numIfEiiEEvT3_S3_T2_PKT1_PKS4_PKS3_SB_21rocsparse_index_base_22rocsparse_matrix_type_20rocsparse_fill_mode_23rocsparse_storage_mode_P22rocsparse_data_status_.num_vgpr, 14
	.set _ZN9rocsparseL23check_matrix_csr_deviceILj256ELj128E21rocsparse_complex_numIfEiiEEvT3_S3_T2_PKT1_PKS4_PKS3_SB_21rocsparse_index_base_22rocsparse_matrix_type_20rocsparse_fill_mode_23rocsparse_storage_mode_P22rocsparse_data_status_.num_agpr, 0
	.set _ZN9rocsparseL23check_matrix_csr_deviceILj256ELj128E21rocsparse_complex_numIfEiiEEvT3_S3_T2_PKT1_PKS4_PKS3_SB_21rocsparse_index_base_22rocsparse_matrix_type_20rocsparse_fill_mode_23rocsparse_storage_mode_P22rocsparse_data_status_.numbered_sgpr, 50
	.set _ZN9rocsparseL23check_matrix_csr_deviceILj256ELj128E21rocsparse_complex_numIfEiiEEvT3_S3_T2_PKT1_PKS4_PKS3_SB_21rocsparse_index_base_22rocsparse_matrix_type_20rocsparse_fill_mode_23rocsparse_storage_mode_P22rocsparse_data_status_.num_named_barrier, 0
	.set _ZN9rocsparseL23check_matrix_csr_deviceILj256ELj128E21rocsparse_complex_numIfEiiEEvT3_S3_T2_PKT1_PKS4_PKS3_SB_21rocsparse_index_base_22rocsparse_matrix_type_20rocsparse_fill_mode_23rocsparse_storage_mode_P22rocsparse_data_status_.private_seg_size, 0
	.set _ZN9rocsparseL23check_matrix_csr_deviceILj256ELj128E21rocsparse_complex_numIfEiiEEvT3_S3_T2_PKT1_PKS4_PKS3_SB_21rocsparse_index_base_22rocsparse_matrix_type_20rocsparse_fill_mode_23rocsparse_storage_mode_P22rocsparse_data_status_.uses_vcc, 1
	.set _ZN9rocsparseL23check_matrix_csr_deviceILj256ELj128E21rocsparse_complex_numIfEiiEEvT3_S3_T2_PKT1_PKS4_PKS3_SB_21rocsparse_index_base_22rocsparse_matrix_type_20rocsparse_fill_mode_23rocsparse_storage_mode_P22rocsparse_data_status_.uses_flat_scratch, 0
	.set _ZN9rocsparseL23check_matrix_csr_deviceILj256ELj128E21rocsparse_complex_numIfEiiEEvT3_S3_T2_PKT1_PKS4_PKS3_SB_21rocsparse_index_base_22rocsparse_matrix_type_20rocsparse_fill_mode_23rocsparse_storage_mode_P22rocsparse_data_status_.has_dyn_sized_stack, 0
	.set _ZN9rocsparseL23check_matrix_csr_deviceILj256ELj128E21rocsparse_complex_numIfEiiEEvT3_S3_T2_PKT1_PKS4_PKS3_SB_21rocsparse_index_base_22rocsparse_matrix_type_20rocsparse_fill_mode_23rocsparse_storage_mode_P22rocsparse_data_status_.has_recursion, 0
	.set _ZN9rocsparseL23check_matrix_csr_deviceILj256ELj128E21rocsparse_complex_numIfEiiEEvT3_S3_T2_PKT1_PKS4_PKS3_SB_21rocsparse_index_base_22rocsparse_matrix_type_20rocsparse_fill_mode_23rocsparse_storage_mode_P22rocsparse_data_status_.has_indirect_call, 0
	.section	.AMDGPU.csdata,"",@progbits
; Kernel info:
; codeLenInByte = 876
; TotalNumSgprs: 54
; NumVgprs: 14
; ScratchSize: 0
; MemoryBound: 0
; FloatMode: 240
; IeeeMode: 1
; LDSByteSize: 0 bytes/workgroup (compile time only)
; SGPRBlocks: 6
; VGPRBlocks: 3
; NumSGPRsForWavesPerEU: 54
; NumVGPRsForWavesPerEU: 14
; Occupancy: 10
; WaveLimiterHint : 0
; COMPUTE_PGM_RSRC2:SCRATCH_EN: 0
; COMPUTE_PGM_RSRC2:USER_SGPR: 6
; COMPUTE_PGM_RSRC2:TRAP_HANDLER: 0
; COMPUTE_PGM_RSRC2:TGID_X_EN: 1
; COMPUTE_PGM_RSRC2:TGID_Y_EN: 0
; COMPUTE_PGM_RSRC2:TGID_Z_EN: 0
; COMPUTE_PGM_RSRC2:TIDIG_COMP_CNT: 0
	.section	.text._ZN9rocsparseL23check_matrix_csr_deviceILj256ELj256E21rocsparse_complex_numIfEiiEEvT3_S3_T2_PKT1_PKS4_PKS3_SB_21rocsparse_index_base_22rocsparse_matrix_type_20rocsparse_fill_mode_23rocsparse_storage_mode_P22rocsparse_data_status_,"axG",@progbits,_ZN9rocsparseL23check_matrix_csr_deviceILj256ELj256E21rocsparse_complex_numIfEiiEEvT3_S3_T2_PKT1_PKS4_PKS3_SB_21rocsparse_index_base_22rocsparse_matrix_type_20rocsparse_fill_mode_23rocsparse_storage_mode_P22rocsparse_data_status_,comdat
	.globl	_ZN9rocsparseL23check_matrix_csr_deviceILj256ELj256E21rocsparse_complex_numIfEiiEEvT3_S3_T2_PKT1_PKS4_PKS3_SB_21rocsparse_index_base_22rocsparse_matrix_type_20rocsparse_fill_mode_23rocsparse_storage_mode_P22rocsparse_data_status_ ; -- Begin function _ZN9rocsparseL23check_matrix_csr_deviceILj256ELj256E21rocsparse_complex_numIfEiiEEvT3_S3_T2_PKT1_PKS4_PKS3_SB_21rocsparse_index_base_22rocsparse_matrix_type_20rocsparse_fill_mode_23rocsparse_storage_mode_P22rocsparse_data_status_
	.p2align	8
	.type	_ZN9rocsparseL23check_matrix_csr_deviceILj256ELj256E21rocsparse_complex_numIfEiiEEvT3_S3_T2_PKT1_PKS4_PKS3_SB_21rocsparse_index_base_22rocsparse_matrix_type_20rocsparse_fill_mode_23rocsparse_storage_mode_P22rocsparse_data_status_,@function
_ZN9rocsparseL23check_matrix_csr_deviceILj256ELj256E21rocsparse_complex_numIfEiiEEvT3_S3_T2_PKT1_PKS4_PKS3_SB_21rocsparse_index_base_22rocsparse_matrix_type_20rocsparse_fill_mode_23rocsparse_storage_mode_P22rocsparse_data_status_: ; @_ZN9rocsparseL23check_matrix_csr_deviceILj256ELj256E21rocsparse_complex_numIfEiiEEvT3_S3_T2_PKT1_PKS4_PKS3_SB_21rocsparse_index_base_22rocsparse_matrix_type_20rocsparse_fill_mode_23rocsparse_storage_mode_P22rocsparse_data_status_
; %bb.0:
	s_load_dwordx2 s[16:17], s[4:5], 0x0
	s_and_b32 s33, s6, 0xffffff
	s_waitcnt lgkmcnt(0)
	s_cmp_lt_i32 s33, s16
	s_cselect_b64 s[0:1], -1, 0
	s_and_saveexec_b64 s[2:3], s[0:1]
	s_cbranch_execz .LBB22_31
; %bb.1:
	s_load_dwordx2 s[0:1], s[4:5], 0x18
	v_lshlrev_b32_e64 v1, 2, s33
	s_mov_b64 s[8:9], -1
	v_mov_b32_e32 v9, 3
	s_waitcnt lgkmcnt(0)
	global_load_dwordx2 v[1:2], v1, s[0:1]
	s_load_dword s0, s[0:1], 0x0
	s_waitcnt vmcnt(0) lgkmcnt(0)
	v_subrev_u32_e32 v7, s0, v2
	v_cmp_lt_i32_e32 vcc, v2, v1
	v_cmp_gt_i32_e64 s[2:3], 0, v7
	v_subrev_u32_e32 v6, s0, v1
	s_or_b64 s[2:3], s[2:3], vcc
	v_cmp_lt_i32_e64 s[0:1], -1, v6
	s_xor_b64 s[2:3], s[2:3], -1
	s_and_b64 s[0:1], s[0:1], s[2:3]
	s_and_saveexec_b64 s[6:7], s[0:1]
	s_cbranch_execz .LBB22_29
; %bb.2:
	v_add_u32_e32 v0, v6, v0
	v_cmp_lt_u32_e32 vcc, v0, v7
	s_mov_b64 s[0:1], 0
	v_mov_b32_e32 v9, 3
	s_and_saveexec_b64 s[18:19], vcc
	s_cbranch_execz .LBB22_28
; %bb.3:
	s_load_dwordx8 s[8:15], s[4:5], 0x20
	s_load_dwordx2 s[20:21], s[4:5], 0x10
	s_mov_b64 s[22:23], 0
                                        ; implicit-def: $sgpr28_sgpr29
                                        ; implicit-def: $sgpr30_sgpr31
                                        ; implicit-def: $sgpr34_sgpr35
	s_waitcnt lgkmcnt(0)
	s_cmp_lg_u32 s13, 0
	s_cselect_b64 s[24:25], -1, 0
	s_cmp_lg_u32 s14, 0
	s_cselect_b64 s[26:27], -1, 0
	;; [unrolled: 2-line block ×3, first 2 shown]
	v_mov_b32_e32 v8, s9
	s_mov_b32 s9, 0x7f800000
	s_branch .LBB22_10
.LBB22_4:                               ;   in Loop: Header=BB22_10 Depth=1
	s_or_b64 exec, exec, s[48:49]
	s_orn2_b64 s[48:49], s[2:3], exec
	s_orn2_b64 s[0:1], s[42:43], exec
.LBB22_5:                               ;   in Loop: Header=BB22_10 Depth=1
	s_or_b64 exec, exec, s[46:47]
	s_orn2_b64 s[2:3], s[48:49], exec
	s_orn2_b64 s[0:1], s[0:1], exec
.LBB22_6:                               ;   in Loop: Header=BB22_10 Depth=1
	s_or_b64 exec, exec, s[44:45]
	s_orn2_b64 s[44:45], s[2:3], exec
	s_orn2_b64 s[2:3], s[0:1], exec
.LBB22_7:                               ;   in Loop: Header=BB22_10 Depth=1
	s_or_b64 exec, exec, s[40:41]
	s_orn2_b64 s[40:41], s[44:45], exec
	s_orn2_b64 s[0:1], s[2:3], exec
.LBB22_8:                               ;   in Loop: Header=BB22_10 Depth=1
	s_or_b64 exec, exec, s[38:39]
	s_andn2_b64 s[2:3], s[34:35], exec
	s_and_b64 s[34:35], s[40:41], exec
	s_or_b64 s[34:35], s[2:3], s[34:35]
	s_andn2_b64 s[2:3], s[30:31], exec
	s_and_b64 s[0:1], s[0:1], exec
	s_or_b64 s[30:31], s[2:3], s[0:1]
.LBB22_9:                               ;   in Loop: Header=BB22_10 Depth=1
	s_or_b64 exec, exec, s[36:37]
	s_and_b64 s[0:1], exec, s[30:31]
	s_or_b64 s[22:23], s[0:1], s[22:23]
	s_andn2_b64 s[0:1], s[28:29], exec
	s_and_b64 s[2:3], s[34:35], exec
	s_or_b64 s[28:29], s[0:1], s[2:3]
	s_andn2_b64 exec, exec, s[22:23]
	s_cbranch_execz .LBB22_27
.LBB22_10:                              ; =>This Inner Loop Header: Depth=1
	v_ashrrev_i32_e32 v1, 31, v0
	v_lshlrev_b64 v[4:5], 2, v[0:1]
	v_mov_b32_e32 v9, 4
	v_add_co_u32_e32 v2, vcc, s8, v4
	v_addc_co_u32_e32 v3, vcc, v8, v5, vcc
	global_load_dword v10, v[2:3], off
	s_or_b64 s[34:35], s[34:35], exec
	s_or_b64 s[30:31], s[30:31], exec
	s_waitcnt vmcnt(0)
	v_subrev_u32_e32 v11, s12, v10
	v_cmp_lt_i32_e32 vcc, -1, v11
	v_cmp_gt_i32_e64 s[0:1], s17, v11
	s_and_b64 s[0:1], vcc, s[0:1]
	s_and_saveexec_b64 s[36:37], s[0:1]
	s_cbranch_execz .LBB22_9
; %bb.11:                               ;   in Loop: Header=BB22_10 Depth=1
	v_cmp_le_i32_e64 s[42:43], v0, v6
	v_cmp_gt_i32_e32 vcc, v0, v6
	v_mov_b32_e32 v9, 4
	s_mov_b64 s[2:3], s[42:43]
	s_and_saveexec_b64 s[38:39], vcc
	s_cbranch_execz .LBB22_13
; %bb.12:                               ;   in Loop: Header=BB22_10 Depth=1
	v_mov_b32_e32 v9, s11
	v_add_co_u32_e32 v4, vcc, s10, v4
	v_addc_co_u32_e32 v5, vcc, v9, v5, vcc
	global_load_dwordx2 v[4:5], v[4:5], off offset:-4
	v_mov_b32_e32 v9, 5
	s_waitcnt vmcnt(0)
	v_subrev_u32_e32 v12, s12, v4
	v_cmp_lt_i32_e64 s[0:1], -1, v12
	v_cmp_gt_i32_e64 s[2:3], s17, v12
	s_and_b64 s[0:1], s[0:1], s[2:3]
	v_cmp_ne_u32_e32 vcc, v5, v4
	s_xor_b64 s[0:1], s[0:1], -1
	s_or_b64 s[0:1], vcc, s[0:1]
	s_andn2_b64 s[2:3], s[42:43], exec
	s_and_b64 s[0:1], s[0:1], exec
	s_or_b64 s[2:3], s[2:3], s[0:1]
.LBB22_13:                              ;   in Loop: Header=BB22_10 Depth=1
	s_or_b64 exec, exec, s[38:39]
	s_mov_b64 s[0:1], -1
	s_mov_b64 s[40:41], -1
	s_and_saveexec_b64 s[38:39], s[2:3]
	s_cbranch_execz .LBB22_8
; %bb.14:                               ;   in Loop: Header=BB22_10 Depth=1
	v_lshlrev_b64 v[4:5], 3, v[0:1]
	v_mov_b32_e32 v1, s21
	v_add_co_u32_e32 v4, vcc, s20, v4
	v_addc_co_u32_e32 v5, vcc, v1, v5, vcc
	global_load_dwordx2 v[4:5], v[4:5], off
	v_mov_b32_e32 v9, 1
	s_mov_b64 s[2:3], -1
	s_mov_b64 s[44:45], -1
	s_waitcnt vmcnt(0)
	v_cmp_neq_f32_e32 vcc, s9, v4
	v_cmp_neq_f32_e64 s[0:1], s9, v5
	s_and_b64 s[0:1], vcc, s[0:1]
	s_and_saveexec_b64 s[40:41], s[0:1]
	s_cbranch_execz .LBB22_7
; %bb.15:                               ;   in Loop: Header=BB22_10 Depth=1
	v_cmp_o_f32_e32 vcc, v4, v5
	v_mov_b32_e32 v9, 2
	s_mov_b64 s[0:1], -1
	s_and_saveexec_b64 s[44:45], vcc
	s_cbranch_execz .LBB22_6
; %bb.16:                               ;   in Loop: Header=BB22_10 Depth=1
	s_and_b64 vcc, exec, s[24:25]
	s_cbranch_vccz .LBB22_19
; %bb.17:                               ;   in Loop: Header=BB22_10 Depth=1
	s_and_b64 vcc, exec, s[26:27]
	s_cbranch_vccz .LBB22_20
; %bb.18:                               ;   in Loop: Header=BB22_10 Depth=1
	v_cmp_le_i32_e32 vcc, s33, v11
	s_mov_b32 s13, 7
	s_and_b64 s[2:3], vcc, exec
	s_cbranch_execz .LBB22_21
	s_branch .LBB22_22
.LBB22_19:                              ;   in Loop: Header=BB22_10 Depth=1
	s_mov_b32 s13, 2
	s_branch .LBB22_22
.LBB22_20:                              ;   in Loop: Header=BB22_10 Depth=1
	s_mov_b64 s[2:3], 0
	s_mov_b32 s13, 2
.LBB22_21:                              ;   in Loop: Header=BB22_10 Depth=1
	v_cmp_ge_i32_e32 vcc, s33, v11
	s_andn2_b64 s[2:3], s[2:3], exec
	s_and_b64 s[46:47], vcc, exec
	s_mov_b32 s13, 7
	s_or_b64 s[2:3], s[2:3], s[46:47]
.LBB22_22:                              ;   in Loop: Header=BB22_10 Depth=1
	v_mov_b32_e32 v9, s13
	s_mov_b64 s[48:49], -1
	s_and_saveexec_b64 s[46:47], s[2:3]
	s_cbranch_execz .LBB22_5
; %bb.23:                               ;   in Loop: Header=BB22_10 Depth=1
	s_nor_b64 s[2:3], s[14:15], s[42:43]
	s_mov_b64 s[42:43], -1
	v_mov_b32_e32 v9, s13
	s_and_saveexec_b64 s[48:49], s[2:3]
	s_cbranch_execz .LBB22_25
; %bb.24:                               ;   in Loop: Header=BB22_10 Depth=1
	global_load_dword v1, v[2:3], off offset:-4
	v_mov_b32_e32 v9, 6
	s_waitcnt vmcnt(0)
	v_subrev_u32_e32 v2, s12, v1
	v_cmp_lt_i32_e64 s[0:1], -1, v2
	v_cmp_gt_i32_e64 s[2:3], s17, v2
	s_and_b64 s[0:1], s[0:1], s[2:3]
	v_cmp_gt_i32_e32 vcc, v10, v1
	s_xor_b64 s[0:1], s[0:1], -1
	s_or_b64 s[0:1], vcc, s[0:1]
	s_orn2_b64 s[0:1], s[0:1], exec
.LBB22_25:                              ;   in Loop: Header=BB22_10 Depth=1
	s_or_b64 exec, exec, s[48:49]
	s_mov_b64 s[2:3], -1
	s_and_saveexec_b64 s[48:49], s[0:1]
	s_cbranch_execz .LBB22_4
; %bb.26:                               ;   in Loop: Header=BB22_10 Depth=1
	v_add_u32_e32 v0, 0x100, v0
	v_cmp_ge_i32_e32 vcc, v0, v7
	s_xor_b64 s[2:3], exec, -1
	s_orn2_b64 s[42:43], vcc, exec
	s_branch .LBB22_4
.LBB22_27:
	s_or_b64 exec, exec, s[22:23]
	s_and_b64 s[0:1], s[28:29], exec
.LBB22_28:
	s_or_b64 exec, exec, s[18:19]
	s_orn2_b64 s[8:9], s[0:1], exec
.LBB22_29:
	s_or_b64 exec, exec, s[6:7]
	s_and_b64 exec, exec, s[8:9]
	s_cbranch_execz .LBB22_31
; %bb.30:
	s_load_dwordx2 s[0:1], s[4:5], 0x40
	v_mov_b32_e32 v0, 0
	s_waitcnt lgkmcnt(0)
	global_store_dword v0, v9, s[0:1]
.LBB22_31:
	s_endpgm
	.section	.rodata,"a",@progbits
	.p2align	6, 0x0
	.amdhsa_kernel _ZN9rocsparseL23check_matrix_csr_deviceILj256ELj256E21rocsparse_complex_numIfEiiEEvT3_S3_T2_PKT1_PKS4_PKS3_SB_21rocsparse_index_base_22rocsparse_matrix_type_20rocsparse_fill_mode_23rocsparse_storage_mode_P22rocsparse_data_status_
		.amdhsa_group_segment_fixed_size 0
		.amdhsa_private_segment_fixed_size 0
		.amdhsa_kernarg_size 72
		.amdhsa_user_sgpr_count 6
		.amdhsa_user_sgpr_private_segment_buffer 1
		.amdhsa_user_sgpr_dispatch_ptr 0
		.amdhsa_user_sgpr_queue_ptr 0
		.amdhsa_user_sgpr_kernarg_segment_ptr 1
		.amdhsa_user_sgpr_dispatch_id 0
		.amdhsa_user_sgpr_flat_scratch_init 0
		.amdhsa_user_sgpr_private_segment_size 0
		.amdhsa_uses_dynamic_stack 0
		.amdhsa_system_sgpr_private_segment_wavefront_offset 0
		.amdhsa_system_sgpr_workgroup_id_x 1
		.amdhsa_system_sgpr_workgroup_id_y 0
		.amdhsa_system_sgpr_workgroup_id_z 0
		.amdhsa_system_sgpr_workgroup_info 0
		.amdhsa_system_vgpr_workitem_id 0
		.amdhsa_next_free_vgpr 13
		.amdhsa_next_free_sgpr 50
		.amdhsa_reserve_vcc 1
		.amdhsa_reserve_flat_scratch 0
		.amdhsa_float_round_mode_32 0
		.amdhsa_float_round_mode_16_64 0
		.amdhsa_float_denorm_mode_32 3
		.amdhsa_float_denorm_mode_16_64 3
		.amdhsa_dx10_clamp 1
		.amdhsa_ieee_mode 1
		.amdhsa_fp16_overflow 0
		.amdhsa_exception_fp_ieee_invalid_op 0
		.amdhsa_exception_fp_denorm_src 0
		.amdhsa_exception_fp_ieee_div_zero 0
		.amdhsa_exception_fp_ieee_overflow 0
		.amdhsa_exception_fp_ieee_underflow 0
		.amdhsa_exception_fp_ieee_inexact 0
		.amdhsa_exception_int_div_zero 0
	.end_amdhsa_kernel
	.section	.text._ZN9rocsparseL23check_matrix_csr_deviceILj256ELj256E21rocsparse_complex_numIfEiiEEvT3_S3_T2_PKT1_PKS4_PKS3_SB_21rocsparse_index_base_22rocsparse_matrix_type_20rocsparse_fill_mode_23rocsparse_storage_mode_P22rocsparse_data_status_,"axG",@progbits,_ZN9rocsparseL23check_matrix_csr_deviceILj256ELj256E21rocsparse_complex_numIfEiiEEvT3_S3_T2_PKT1_PKS4_PKS3_SB_21rocsparse_index_base_22rocsparse_matrix_type_20rocsparse_fill_mode_23rocsparse_storage_mode_P22rocsparse_data_status_,comdat
.Lfunc_end22:
	.size	_ZN9rocsparseL23check_matrix_csr_deviceILj256ELj256E21rocsparse_complex_numIfEiiEEvT3_S3_T2_PKT1_PKS4_PKS3_SB_21rocsparse_index_base_22rocsparse_matrix_type_20rocsparse_fill_mode_23rocsparse_storage_mode_P22rocsparse_data_status_, .Lfunc_end22-_ZN9rocsparseL23check_matrix_csr_deviceILj256ELj256E21rocsparse_complex_numIfEiiEEvT3_S3_T2_PKT1_PKS4_PKS3_SB_21rocsparse_index_base_22rocsparse_matrix_type_20rocsparse_fill_mode_23rocsparse_storage_mode_P22rocsparse_data_status_
                                        ; -- End function
	.set _ZN9rocsparseL23check_matrix_csr_deviceILj256ELj256E21rocsparse_complex_numIfEiiEEvT3_S3_T2_PKT1_PKS4_PKS3_SB_21rocsparse_index_base_22rocsparse_matrix_type_20rocsparse_fill_mode_23rocsparse_storage_mode_P22rocsparse_data_status_.num_vgpr, 13
	.set _ZN9rocsparseL23check_matrix_csr_deviceILj256ELj256E21rocsparse_complex_numIfEiiEEvT3_S3_T2_PKT1_PKS4_PKS3_SB_21rocsparse_index_base_22rocsparse_matrix_type_20rocsparse_fill_mode_23rocsparse_storage_mode_P22rocsparse_data_status_.num_agpr, 0
	.set _ZN9rocsparseL23check_matrix_csr_deviceILj256ELj256E21rocsparse_complex_numIfEiiEEvT3_S3_T2_PKT1_PKS4_PKS3_SB_21rocsparse_index_base_22rocsparse_matrix_type_20rocsparse_fill_mode_23rocsparse_storage_mode_P22rocsparse_data_status_.numbered_sgpr, 50
	.set _ZN9rocsparseL23check_matrix_csr_deviceILj256ELj256E21rocsparse_complex_numIfEiiEEvT3_S3_T2_PKT1_PKS4_PKS3_SB_21rocsparse_index_base_22rocsparse_matrix_type_20rocsparse_fill_mode_23rocsparse_storage_mode_P22rocsparse_data_status_.num_named_barrier, 0
	.set _ZN9rocsparseL23check_matrix_csr_deviceILj256ELj256E21rocsparse_complex_numIfEiiEEvT3_S3_T2_PKT1_PKS4_PKS3_SB_21rocsparse_index_base_22rocsparse_matrix_type_20rocsparse_fill_mode_23rocsparse_storage_mode_P22rocsparse_data_status_.private_seg_size, 0
	.set _ZN9rocsparseL23check_matrix_csr_deviceILj256ELj256E21rocsparse_complex_numIfEiiEEvT3_S3_T2_PKT1_PKS4_PKS3_SB_21rocsparse_index_base_22rocsparse_matrix_type_20rocsparse_fill_mode_23rocsparse_storage_mode_P22rocsparse_data_status_.uses_vcc, 1
	.set _ZN9rocsparseL23check_matrix_csr_deviceILj256ELj256E21rocsparse_complex_numIfEiiEEvT3_S3_T2_PKT1_PKS4_PKS3_SB_21rocsparse_index_base_22rocsparse_matrix_type_20rocsparse_fill_mode_23rocsparse_storage_mode_P22rocsparse_data_status_.uses_flat_scratch, 0
	.set _ZN9rocsparseL23check_matrix_csr_deviceILj256ELj256E21rocsparse_complex_numIfEiiEEvT3_S3_T2_PKT1_PKS4_PKS3_SB_21rocsparse_index_base_22rocsparse_matrix_type_20rocsparse_fill_mode_23rocsparse_storage_mode_P22rocsparse_data_status_.has_dyn_sized_stack, 0
	.set _ZN9rocsparseL23check_matrix_csr_deviceILj256ELj256E21rocsparse_complex_numIfEiiEEvT3_S3_T2_PKT1_PKS4_PKS3_SB_21rocsparse_index_base_22rocsparse_matrix_type_20rocsparse_fill_mode_23rocsparse_storage_mode_P22rocsparse_data_status_.has_recursion, 0
	.set _ZN9rocsparseL23check_matrix_csr_deviceILj256ELj256E21rocsparse_complex_numIfEiiEEvT3_S3_T2_PKT1_PKS4_PKS3_SB_21rocsparse_index_base_22rocsparse_matrix_type_20rocsparse_fill_mode_23rocsparse_storage_mode_P22rocsparse_data_status_.has_indirect_call, 0
	.section	.AMDGPU.csdata,"",@progbits
; Kernel info:
; codeLenInByte = 872
; TotalNumSgprs: 54
; NumVgprs: 13
; ScratchSize: 0
; MemoryBound: 0
; FloatMode: 240
; IeeeMode: 1
; LDSByteSize: 0 bytes/workgroup (compile time only)
; SGPRBlocks: 6
; VGPRBlocks: 3
; NumSGPRsForWavesPerEU: 54
; NumVGPRsForWavesPerEU: 13
; Occupancy: 10
; WaveLimiterHint : 0
; COMPUTE_PGM_RSRC2:SCRATCH_EN: 0
; COMPUTE_PGM_RSRC2:USER_SGPR: 6
; COMPUTE_PGM_RSRC2:TRAP_HANDLER: 0
; COMPUTE_PGM_RSRC2:TGID_X_EN: 1
; COMPUTE_PGM_RSRC2:TGID_Y_EN: 0
; COMPUTE_PGM_RSRC2:TGID_Z_EN: 0
; COMPUTE_PGM_RSRC2:TIDIG_COMP_CNT: 0
	.section	.text._ZN9rocsparseL23check_matrix_csr_deviceILj256ELj4E21rocsparse_complex_numIdEiiEEvT3_S3_T2_PKT1_PKS4_PKS3_SB_21rocsparse_index_base_22rocsparse_matrix_type_20rocsparse_fill_mode_23rocsparse_storage_mode_P22rocsparse_data_status_,"axG",@progbits,_ZN9rocsparseL23check_matrix_csr_deviceILj256ELj4E21rocsparse_complex_numIdEiiEEvT3_S3_T2_PKT1_PKS4_PKS3_SB_21rocsparse_index_base_22rocsparse_matrix_type_20rocsparse_fill_mode_23rocsparse_storage_mode_P22rocsparse_data_status_,comdat
	.globl	_ZN9rocsparseL23check_matrix_csr_deviceILj256ELj4E21rocsparse_complex_numIdEiiEEvT3_S3_T2_PKT1_PKS4_PKS3_SB_21rocsparse_index_base_22rocsparse_matrix_type_20rocsparse_fill_mode_23rocsparse_storage_mode_P22rocsparse_data_status_ ; -- Begin function _ZN9rocsparseL23check_matrix_csr_deviceILj256ELj4E21rocsparse_complex_numIdEiiEEvT3_S3_T2_PKT1_PKS4_PKS3_SB_21rocsparse_index_base_22rocsparse_matrix_type_20rocsparse_fill_mode_23rocsparse_storage_mode_P22rocsparse_data_status_
	.p2align	8
	.type	_ZN9rocsparseL23check_matrix_csr_deviceILj256ELj4E21rocsparse_complex_numIdEiiEEvT3_S3_T2_PKT1_PKS4_PKS3_SB_21rocsparse_index_base_22rocsparse_matrix_type_20rocsparse_fill_mode_23rocsparse_storage_mode_P22rocsparse_data_status_,@function
_ZN9rocsparseL23check_matrix_csr_deviceILj256ELj4E21rocsparse_complex_numIdEiiEEvT3_S3_T2_PKT1_PKS4_PKS3_SB_21rocsparse_index_base_22rocsparse_matrix_type_20rocsparse_fill_mode_23rocsparse_storage_mode_P22rocsparse_data_status_: ; @_ZN9rocsparseL23check_matrix_csr_deviceILj256ELj4E21rocsparse_complex_numIdEiiEEvT3_S3_T2_PKT1_PKS4_PKS3_SB_21rocsparse_index_base_22rocsparse_matrix_type_20rocsparse_fill_mode_23rocsparse_storage_mode_P22rocsparse_data_status_
; %bb.0:
	s_load_dwordx2 s[16:17], s[4:5], 0x0
	v_lshl_or_b32 v1, s6, 8, v0
	v_lshrrev_b32_e32 v8, 2, v1
	s_waitcnt lgkmcnt(0)
	v_cmp_gt_i32_e32 vcc, s16, v8
	s_and_saveexec_b64 s[0:1], vcc
	s_cbranch_execz .LBB23_31
; %bb.1:
	s_load_dwordx2 s[0:1], s[4:5], 0x18
	v_lshlrev_b32_e32 v1, 2, v8
	s_mov_b64 s[8:9], -1
	v_mov_b32_e32 v12, 3
	s_waitcnt lgkmcnt(0)
	global_load_dwordx2 v[1:2], v1, s[0:1]
	s_load_dword s0, s[0:1], 0x0
	s_waitcnt vmcnt(0) lgkmcnt(0)
	v_subrev_u32_e32 v10, s0, v2
	v_cmp_lt_i32_e32 vcc, v2, v1
	v_cmp_gt_i32_e64 s[2:3], 0, v10
	v_subrev_u32_e32 v9, s0, v1
	s_or_b64 s[2:3], s[2:3], vcc
	v_cmp_lt_i32_e64 s[0:1], -1, v9
	s_xor_b64 s[2:3], s[2:3], -1
	s_and_b64 s[0:1], s[0:1], s[2:3]
	s_and_saveexec_b64 s[6:7], s[0:1]
	s_cbranch_execz .LBB23_29
; %bb.2:
	v_and_b32_e32 v0, 3, v0
	v_add_u32_e32 v4, v9, v0
	v_mov_b32_e32 v12, 3
	v_cmp_lt_u32_e32 vcc, v4, v10
	s_mov_b64 s[0:1], 0
	s_and_saveexec_b64 s[18:19], vcc
	s_cbranch_execz .LBB23_28
; %bb.3:
	s_load_dwordx8 s[8:15], s[4:5], 0x20
	s_load_dwordx2 s[20:21], s[4:5], 0x10
	s_mov_b32 s28, 0
	s_mov_b64 s[22:23], 0
	s_mov_b32 s29, 0x7ff00000
	s_waitcnt lgkmcnt(0)
	s_cmp_lg_u32 s13, 0
	s_cselect_b64 s[24:25], -1, 0
	s_cmp_lg_u32 s14, 0
	s_cselect_b64 s[26:27], -1, 0
	;; [unrolled: 2-line block ×3, first 2 shown]
	v_mov_b32_e32 v11, s9
                                        ; implicit-def: $sgpr30_sgpr31
                                        ; implicit-def: $sgpr34_sgpr35
                                        ; implicit-def: $sgpr36_sgpr37
	s_branch .LBB23_10
.LBB23_4:                               ;   in Loop: Header=BB23_10 Depth=1
	s_or_b64 exec, exec, s[50:51]
	s_orn2_b64 s[50:51], s[2:3], exec
	s_orn2_b64 s[0:1], s[44:45], exec
.LBB23_5:                               ;   in Loop: Header=BB23_10 Depth=1
	s_or_b64 exec, exec, s[48:49]
	s_orn2_b64 s[2:3], s[50:51], exec
	s_orn2_b64 s[0:1], s[0:1], exec
.LBB23_6:                               ;   in Loop: Header=BB23_10 Depth=1
	s_or_b64 exec, exec, s[46:47]
	s_orn2_b64 s[46:47], s[2:3], exec
	s_orn2_b64 s[2:3], s[0:1], exec
.LBB23_7:                               ;   in Loop: Header=BB23_10 Depth=1
	s_or_b64 exec, exec, s[42:43]
	s_orn2_b64 s[42:43], s[46:47], exec
	s_orn2_b64 s[0:1], s[2:3], exec
.LBB23_8:                               ;   in Loop: Header=BB23_10 Depth=1
	s_or_b64 exec, exec, s[40:41]
	s_andn2_b64 s[2:3], s[36:37], exec
	s_and_b64 s[36:37], s[42:43], exec
	s_or_b64 s[36:37], s[2:3], s[36:37]
	s_andn2_b64 s[2:3], s[34:35], exec
	s_and_b64 s[0:1], s[0:1], exec
	s_or_b64 s[34:35], s[2:3], s[0:1]
.LBB23_9:                               ;   in Loop: Header=BB23_10 Depth=1
	s_or_b64 exec, exec, s[38:39]
	s_and_b64 s[0:1], exec, s[34:35]
	s_or_b64 s[22:23], s[0:1], s[22:23]
	s_andn2_b64 s[0:1], s[30:31], exec
	s_and_b64 s[2:3], s[36:37], exec
	s_or_b64 s[30:31], s[0:1], s[2:3]
	s_andn2_b64 exec, exec, s[22:23]
	s_cbranch_execz .LBB23_27
.LBB23_10:                              ; =>This Inner Loop Header: Depth=1
	v_ashrrev_i32_e32 v5, 31, v4
	v_lshlrev_b64 v[0:1], 2, v[4:5]
	v_mov_b32_e32 v12, 4
	v_add_co_u32_e32 v6, vcc, s8, v0
	v_addc_co_u32_e32 v7, vcc, v11, v1, vcc
	global_load_dword v13, v[6:7], off
	s_or_b64 s[36:37], s[36:37], exec
	s_or_b64 s[34:35], s[34:35], exec
	s_waitcnt vmcnt(0)
	v_subrev_u32_e32 v14, s12, v13
	v_cmp_lt_i32_e32 vcc, -1, v14
	v_cmp_gt_i32_e64 s[0:1], s17, v14
	s_and_b64 s[0:1], vcc, s[0:1]
	s_and_saveexec_b64 s[38:39], s[0:1]
	s_cbranch_execz .LBB23_9
; %bb.11:                               ;   in Loop: Header=BB23_10 Depth=1
	v_cmp_le_i32_e64 s[44:45], v4, v9
	v_cmp_gt_i32_e32 vcc, v4, v9
	v_mov_b32_e32 v12, 4
	s_mov_b64 s[2:3], s[44:45]
	s_and_saveexec_b64 s[40:41], vcc
	s_cbranch_execz .LBB23_13
; %bb.12:                               ;   in Loop: Header=BB23_10 Depth=1
	v_mov_b32_e32 v2, s11
	v_add_co_u32_e32 v0, vcc, s10, v0
	v_addc_co_u32_e32 v1, vcc, v2, v1, vcc
	global_load_dwordx2 v[0:1], v[0:1], off offset:-4
	v_mov_b32_e32 v12, 5
	s_waitcnt vmcnt(0)
	v_subrev_u32_e32 v2, s12, v0
	v_cmp_lt_i32_e64 s[0:1], -1, v2
	v_cmp_gt_i32_e64 s[2:3], s17, v2
	s_and_b64 s[0:1], s[0:1], s[2:3]
	v_cmp_ne_u32_e32 vcc, v1, v0
	s_xor_b64 s[0:1], s[0:1], -1
	s_or_b64 s[0:1], vcc, s[0:1]
	s_andn2_b64 s[2:3], s[44:45], exec
	s_and_b64 s[0:1], s[0:1], exec
	s_or_b64 s[2:3], s[2:3], s[0:1]
.LBB23_13:                              ;   in Loop: Header=BB23_10 Depth=1
	s_or_b64 exec, exec, s[40:41]
	s_mov_b64 s[0:1], -1
	s_mov_b64 s[42:43], -1
	s_and_saveexec_b64 s[40:41], s[2:3]
	s_cbranch_execz .LBB23_8
; %bb.14:                               ;   in Loop: Header=BB23_10 Depth=1
	v_lshlrev_b64 v[0:1], 4, v[4:5]
	v_mov_b32_e32 v2, s21
	v_add_co_u32_e32 v0, vcc, s20, v0
	v_addc_co_u32_e32 v1, vcc, v2, v1, vcc
	global_load_dwordx4 v[0:3], v[0:1], off
	v_mov_b32_e32 v12, 1
	s_mov_b64 s[2:3], -1
	s_mov_b64 s[46:47], -1
	s_waitcnt vmcnt(0)
	v_cmp_neq_f64_e32 vcc, s[28:29], v[0:1]
	v_cmp_neq_f64_e64 s[0:1], s[28:29], v[2:3]
	s_and_b64 s[0:1], vcc, s[0:1]
	s_and_saveexec_b64 s[42:43], s[0:1]
	s_cbranch_execz .LBB23_7
; %bb.15:                               ;   in Loop: Header=BB23_10 Depth=1
	v_cmp_o_f64_e32 vcc, v[0:1], v[2:3]
	v_mov_b32_e32 v12, 2
	s_mov_b64 s[0:1], -1
	s_and_saveexec_b64 s[46:47], vcc
	s_cbranch_execz .LBB23_6
; %bb.16:                               ;   in Loop: Header=BB23_10 Depth=1
	s_and_b64 vcc, exec, s[24:25]
	s_cbranch_vccz .LBB23_19
; %bb.17:                               ;   in Loop: Header=BB23_10 Depth=1
	s_and_b64 vcc, exec, s[26:27]
	s_cbranch_vccz .LBB23_20
; %bb.18:                               ;   in Loop: Header=BB23_10 Depth=1
	v_cmp_le_i32_e32 vcc, v8, v14
	s_mov_b32 s9, 7
	s_and_b64 s[2:3], vcc, exec
	s_cbranch_execz .LBB23_21
	s_branch .LBB23_22
.LBB23_19:                              ;   in Loop: Header=BB23_10 Depth=1
	s_mov_b32 s9, 2
	s_branch .LBB23_22
.LBB23_20:                              ;   in Loop: Header=BB23_10 Depth=1
	s_mov_b64 s[2:3], 0
	s_mov_b32 s9, 2
.LBB23_21:                              ;   in Loop: Header=BB23_10 Depth=1
	v_cmp_ge_i32_e32 vcc, v8, v14
	s_andn2_b64 s[2:3], s[2:3], exec
	s_and_b64 s[48:49], vcc, exec
	s_mov_b32 s9, 7
	s_or_b64 s[2:3], s[2:3], s[48:49]
.LBB23_22:                              ;   in Loop: Header=BB23_10 Depth=1
	v_mov_b32_e32 v12, s9
	s_mov_b64 s[50:51], -1
	s_and_saveexec_b64 s[48:49], s[2:3]
	s_cbranch_execz .LBB23_5
; %bb.23:                               ;   in Loop: Header=BB23_10 Depth=1
	s_nor_b64 s[2:3], s[14:15], s[44:45]
	s_mov_b64 s[44:45], -1
	v_mov_b32_e32 v12, s9
	s_and_saveexec_b64 s[50:51], s[2:3]
	s_cbranch_execz .LBB23_25
; %bb.24:                               ;   in Loop: Header=BB23_10 Depth=1
	global_load_dword v0, v[6:7], off offset:-4
	v_mov_b32_e32 v12, 6
	s_waitcnt vmcnt(0)
	v_subrev_u32_e32 v1, s12, v0
	v_cmp_lt_i32_e64 s[0:1], -1, v1
	v_cmp_gt_i32_e64 s[2:3], s17, v1
	s_and_b64 s[0:1], s[0:1], s[2:3]
	v_cmp_gt_i32_e32 vcc, v13, v0
	s_xor_b64 s[0:1], s[0:1], -1
	s_or_b64 s[0:1], vcc, s[0:1]
	s_orn2_b64 s[0:1], s[0:1], exec
.LBB23_25:                              ;   in Loop: Header=BB23_10 Depth=1
	s_or_b64 exec, exec, s[50:51]
	s_mov_b64 s[2:3], -1
	s_and_saveexec_b64 s[50:51], s[0:1]
	s_cbranch_execz .LBB23_4
; %bb.26:                               ;   in Loop: Header=BB23_10 Depth=1
	v_add_u32_e32 v4, 4, v4
	v_cmp_ge_i32_e32 vcc, v4, v10
	s_xor_b64 s[2:3], exec, -1
	s_orn2_b64 s[44:45], vcc, exec
	s_branch .LBB23_4
.LBB23_27:
	s_or_b64 exec, exec, s[22:23]
	s_and_b64 s[0:1], s[30:31], exec
.LBB23_28:
	s_or_b64 exec, exec, s[18:19]
	s_orn2_b64 s[8:9], s[0:1], exec
.LBB23_29:
	s_or_b64 exec, exec, s[6:7]
	s_and_b64 exec, exec, s[8:9]
	s_cbranch_execz .LBB23_31
; %bb.30:
	s_load_dwordx2 s[0:1], s[4:5], 0x40
	v_mov_b32_e32 v0, 0
	s_waitcnt lgkmcnt(0)
	global_store_dword v0, v12, s[0:1]
.LBB23_31:
	s_endpgm
	.section	.rodata,"a",@progbits
	.p2align	6, 0x0
	.amdhsa_kernel _ZN9rocsparseL23check_matrix_csr_deviceILj256ELj4E21rocsparse_complex_numIdEiiEEvT3_S3_T2_PKT1_PKS4_PKS3_SB_21rocsparse_index_base_22rocsparse_matrix_type_20rocsparse_fill_mode_23rocsparse_storage_mode_P22rocsparse_data_status_
		.amdhsa_group_segment_fixed_size 0
		.amdhsa_private_segment_fixed_size 0
		.amdhsa_kernarg_size 72
		.amdhsa_user_sgpr_count 6
		.amdhsa_user_sgpr_private_segment_buffer 1
		.amdhsa_user_sgpr_dispatch_ptr 0
		.amdhsa_user_sgpr_queue_ptr 0
		.amdhsa_user_sgpr_kernarg_segment_ptr 1
		.amdhsa_user_sgpr_dispatch_id 0
		.amdhsa_user_sgpr_flat_scratch_init 0
		.amdhsa_user_sgpr_private_segment_size 0
		.amdhsa_uses_dynamic_stack 0
		.amdhsa_system_sgpr_private_segment_wavefront_offset 0
		.amdhsa_system_sgpr_workgroup_id_x 1
		.amdhsa_system_sgpr_workgroup_id_y 0
		.amdhsa_system_sgpr_workgroup_id_z 0
		.amdhsa_system_sgpr_workgroup_info 0
		.amdhsa_system_vgpr_workitem_id 0
		.amdhsa_next_free_vgpr 15
		.amdhsa_next_free_sgpr 52
		.amdhsa_reserve_vcc 1
		.amdhsa_reserve_flat_scratch 0
		.amdhsa_float_round_mode_32 0
		.amdhsa_float_round_mode_16_64 0
		.amdhsa_float_denorm_mode_32 3
		.amdhsa_float_denorm_mode_16_64 3
		.amdhsa_dx10_clamp 1
		.amdhsa_ieee_mode 1
		.amdhsa_fp16_overflow 0
		.amdhsa_exception_fp_ieee_invalid_op 0
		.amdhsa_exception_fp_denorm_src 0
		.amdhsa_exception_fp_ieee_div_zero 0
		.amdhsa_exception_fp_ieee_overflow 0
		.amdhsa_exception_fp_ieee_underflow 0
		.amdhsa_exception_fp_ieee_inexact 0
		.amdhsa_exception_int_div_zero 0
	.end_amdhsa_kernel
	.section	.text._ZN9rocsparseL23check_matrix_csr_deviceILj256ELj4E21rocsparse_complex_numIdEiiEEvT3_S3_T2_PKT1_PKS4_PKS3_SB_21rocsparse_index_base_22rocsparse_matrix_type_20rocsparse_fill_mode_23rocsparse_storage_mode_P22rocsparse_data_status_,"axG",@progbits,_ZN9rocsparseL23check_matrix_csr_deviceILj256ELj4E21rocsparse_complex_numIdEiiEEvT3_S3_T2_PKT1_PKS4_PKS3_SB_21rocsparse_index_base_22rocsparse_matrix_type_20rocsparse_fill_mode_23rocsparse_storage_mode_P22rocsparse_data_status_,comdat
.Lfunc_end23:
	.size	_ZN9rocsparseL23check_matrix_csr_deviceILj256ELj4E21rocsparse_complex_numIdEiiEEvT3_S3_T2_PKT1_PKS4_PKS3_SB_21rocsparse_index_base_22rocsparse_matrix_type_20rocsparse_fill_mode_23rocsparse_storage_mode_P22rocsparse_data_status_, .Lfunc_end23-_ZN9rocsparseL23check_matrix_csr_deviceILj256ELj4E21rocsparse_complex_numIdEiiEEvT3_S3_T2_PKT1_PKS4_PKS3_SB_21rocsparse_index_base_22rocsparse_matrix_type_20rocsparse_fill_mode_23rocsparse_storage_mode_P22rocsparse_data_status_
                                        ; -- End function
	.set _ZN9rocsparseL23check_matrix_csr_deviceILj256ELj4E21rocsparse_complex_numIdEiiEEvT3_S3_T2_PKT1_PKS4_PKS3_SB_21rocsparse_index_base_22rocsparse_matrix_type_20rocsparse_fill_mode_23rocsparse_storage_mode_P22rocsparse_data_status_.num_vgpr, 15
	.set _ZN9rocsparseL23check_matrix_csr_deviceILj256ELj4E21rocsparse_complex_numIdEiiEEvT3_S3_T2_PKT1_PKS4_PKS3_SB_21rocsparse_index_base_22rocsparse_matrix_type_20rocsparse_fill_mode_23rocsparse_storage_mode_P22rocsparse_data_status_.num_agpr, 0
	.set _ZN9rocsparseL23check_matrix_csr_deviceILj256ELj4E21rocsparse_complex_numIdEiiEEvT3_S3_T2_PKT1_PKS4_PKS3_SB_21rocsparse_index_base_22rocsparse_matrix_type_20rocsparse_fill_mode_23rocsparse_storage_mode_P22rocsparse_data_status_.numbered_sgpr, 52
	.set _ZN9rocsparseL23check_matrix_csr_deviceILj256ELj4E21rocsparse_complex_numIdEiiEEvT3_S3_T2_PKT1_PKS4_PKS3_SB_21rocsparse_index_base_22rocsparse_matrix_type_20rocsparse_fill_mode_23rocsparse_storage_mode_P22rocsparse_data_status_.num_named_barrier, 0
	.set _ZN9rocsparseL23check_matrix_csr_deviceILj256ELj4E21rocsparse_complex_numIdEiiEEvT3_S3_T2_PKT1_PKS4_PKS3_SB_21rocsparse_index_base_22rocsparse_matrix_type_20rocsparse_fill_mode_23rocsparse_storage_mode_P22rocsparse_data_status_.private_seg_size, 0
	.set _ZN9rocsparseL23check_matrix_csr_deviceILj256ELj4E21rocsparse_complex_numIdEiiEEvT3_S3_T2_PKT1_PKS4_PKS3_SB_21rocsparse_index_base_22rocsparse_matrix_type_20rocsparse_fill_mode_23rocsparse_storage_mode_P22rocsparse_data_status_.uses_vcc, 1
	.set _ZN9rocsparseL23check_matrix_csr_deviceILj256ELj4E21rocsparse_complex_numIdEiiEEvT3_S3_T2_PKT1_PKS4_PKS3_SB_21rocsparse_index_base_22rocsparse_matrix_type_20rocsparse_fill_mode_23rocsparse_storage_mode_P22rocsparse_data_status_.uses_flat_scratch, 0
	.set _ZN9rocsparseL23check_matrix_csr_deviceILj256ELj4E21rocsparse_complex_numIdEiiEEvT3_S3_T2_PKT1_PKS4_PKS3_SB_21rocsparse_index_base_22rocsparse_matrix_type_20rocsparse_fill_mode_23rocsparse_storage_mode_P22rocsparse_data_status_.has_dyn_sized_stack, 0
	.set _ZN9rocsparseL23check_matrix_csr_deviceILj256ELj4E21rocsparse_complex_numIdEiiEEvT3_S3_T2_PKT1_PKS4_PKS3_SB_21rocsparse_index_base_22rocsparse_matrix_type_20rocsparse_fill_mode_23rocsparse_storage_mode_P22rocsparse_data_status_.has_recursion, 0
	.set _ZN9rocsparseL23check_matrix_csr_deviceILj256ELj4E21rocsparse_complex_numIdEiiEEvT3_S3_T2_PKT1_PKS4_PKS3_SB_21rocsparse_index_base_22rocsparse_matrix_type_20rocsparse_fill_mode_23rocsparse_storage_mode_P22rocsparse_data_status_.has_indirect_call, 0
	.section	.AMDGPU.csdata,"",@progbits
; Kernel info:
; codeLenInByte = 872
; TotalNumSgprs: 56
; NumVgprs: 15
; ScratchSize: 0
; MemoryBound: 0
; FloatMode: 240
; IeeeMode: 1
; LDSByteSize: 0 bytes/workgroup (compile time only)
; SGPRBlocks: 6
; VGPRBlocks: 3
; NumSGPRsForWavesPerEU: 56
; NumVGPRsForWavesPerEU: 15
; Occupancy: 10
; WaveLimiterHint : 0
; COMPUTE_PGM_RSRC2:SCRATCH_EN: 0
; COMPUTE_PGM_RSRC2:USER_SGPR: 6
; COMPUTE_PGM_RSRC2:TRAP_HANDLER: 0
; COMPUTE_PGM_RSRC2:TGID_X_EN: 1
; COMPUTE_PGM_RSRC2:TGID_Y_EN: 0
; COMPUTE_PGM_RSRC2:TGID_Z_EN: 0
; COMPUTE_PGM_RSRC2:TIDIG_COMP_CNT: 0
	.section	.text._ZN9rocsparseL23check_matrix_csr_deviceILj256ELj8E21rocsparse_complex_numIdEiiEEvT3_S3_T2_PKT1_PKS4_PKS3_SB_21rocsparse_index_base_22rocsparse_matrix_type_20rocsparse_fill_mode_23rocsparse_storage_mode_P22rocsparse_data_status_,"axG",@progbits,_ZN9rocsparseL23check_matrix_csr_deviceILj256ELj8E21rocsparse_complex_numIdEiiEEvT3_S3_T2_PKT1_PKS4_PKS3_SB_21rocsparse_index_base_22rocsparse_matrix_type_20rocsparse_fill_mode_23rocsparse_storage_mode_P22rocsparse_data_status_,comdat
	.globl	_ZN9rocsparseL23check_matrix_csr_deviceILj256ELj8E21rocsparse_complex_numIdEiiEEvT3_S3_T2_PKT1_PKS4_PKS3_SB_21rocsparse_index_base_22rocsparse_matrix_type_20rocsparse_fill_mode_23rocsparse_storage_mode_P22rocsparse_data_status_ ; -- Begin function _ZN9rocsparseL23check_matrix_csr_deviceILj256ELj8E21rocsparse_complex_numIdEiiEEvT3_S3_T2_PKT1_PKS4_PKS3_SB_21rocsparse_index_base_22rocsparse_matrix_type_20rocsparse_fill_mode_23rocsparse_storage_mode_P22rocsparse_data_status_
	.p2align	8
	.type	_ZN9rocsparseL23check_matrix_csr_deviceILj256ELj8E21rocsparse_complex_numIdEiiEEvT3_S3_T2_PKT1_PKS4_PKS3_SB_21rocsparse_index_base_22rocsparse_matrix_type_20rocsparse_fill_mode_23rocsparse_storage_mode_P22rocsparse_data_status_,@function
_ZN9rocsparseL23check_matrix_csr_deviceILj256ELj8E21rocsparse_complex_numIdEiiEEvT3_S3_T2_PKT1_PKS4_PKS3_SB_21rocsparse_index_base_22rocsparse_matrix_type_20rocsparse_fill_mode_23rocsparse_storage_mode_P22rocsparse_data_status_: ; @_ZN9rocsparseL23check_matrix_csr_deviceILj256ELj8E21rocsparse_complex_numIdEiiEEvT3_S3_T2_PKT1_PKS4_PKS3_SB_21rocsparse_index_base_22rocsparse_matrix_type_20rocsparse_fill_mode_23rocsparse_storage_mode_P22rocsparse_data_status_
; %bb.0:
	s_load_dwordx2 s[16:17], s[4:5], 0x0
	v_lshl_or_b32 v1, s6, 8, v0
	v_lshrrev_b32_e32 v8, 3, v1
	s_waitcnt lgkmcnt(0)
	v_cmp_gt_i32_e32 vcc, s16, v8
	s_and_saveexec_b64 s[0:1], vcc
	s_cbranch_execz .LBB24_31
; %bb.1:
	s_load_dwordx2 s[0:1], s[4:5], 0x18
	v_lshlrev_b32_e32 v1, 2, v8
	s_mov_b64 s[8:9], -1
	v_mov_b32_e32 v12, 3
	s_waitcnt lgkmcnt(0)
	global_load_dwordx2 v[1:2], v1, s[0:1]
	s_load_dword s0, s[0:1], 0x0
	s_waitcnt vmcnt(0) lgkmcnt(0)
	v_subrev_u32_e32 v10, s0, v2
	v_cmp_lt_i32_e32 vcc, v2, v1
	v_cmp_gt_i32_e64 s[2:3], 0, v10
	v_subrev_u32_e32 v9, s0, v1
	s_or_b64 s[2:3], s[2:3], vcc
	v_cmp_lt_i32_e64 s[0:1], -1, v9
	s_xor_b64 s[2:3], s[2:3], -1
	s_and_b64 s[0:1], s[0:1], s[2:3]
	s_and_saveexec_b64 s[6:7], s[0:1]
	s_cbranch_execz .LBB24_29
; %bb.2:
	v_and_b32_e32 v0, 7, v0
	v_add_u32_e32 v4, v9, v0
	v_cmp_lt_u32_e32 vcc, v4, v10
	s_mov_b64 s[0:1], 0
	v_mov_b32_e32 v12, 3
	s_and_saveexec_b64 s[18:19], vcc
	s_cbranch_execz .LBB24_28
; %bb.3:
	s_load_dwordx8 s[8:15], s[4:5], 0x20
	s_load_dwordx2 s[20:21], s[4:5], 0x10
	s_mov_b32 s28, 0
	s_mov_b64 s[22:23], 0
	s_mov_b32 s29, 0x7ff00000
	s_waitcnt lgkmcnt(0)
	s_cmp_lg_u32 s13, 0
	s_cselect_b64 s[24:25], -1, 0
	s_cmp_lg_u32 s14, 0
	s_cselect_b64 s[26:27], -1, 0
	;; [unrolled: 2-line block ×3, first 2 shown]
	v_mov_b32_e32 v11, s9
                                        ; implicit-def: $sgpr30_sgpr31
                                        ; implicit-def: $sgpr34_sgpr35
                                        ; implicit-def: $sgpr36_sgpr37
	s_branch .LBB24_10
.LBB24_4:                               ;   in Loop: Header=BB24_10 Depth=1
	s_or_b64 exec, exec, s[50:51]
	s_orn2_b64 s[50:51], s[2:3], exec
	s_orn2_b64 s[0:1], s[44:45], exec
.LBB24_5:                               ;   in Loop: Header=BB24_10 Depth=1
	s_or_b64 exec, exec, s[48:49]
	s_orn2_b64 s[2:3], s[50:51], exec
	s_orn2_b64 s[0:1], s[0:1], exec
.LBB24_6:                               ;   in Loop: Header=BB24_10 Depth=1
	s_or_b64 exec, exec, s[46:47]
	s_orn2_b64 s[46:47], s[2:3], exec
	s_orn2_b64 s[2:3], s[0:1], exec
.LBB24_7:                               ;   in Loop: Header=BB24_10 Depth=1
	s_or_b64 exec, exec, s[42:43]
	s_orn2_b64 s[42:43], s[46:47], exec
	s_orn2_b64 s[0:1], s[2:3], exec
.LBB24_8:                               ;   in Loop: Header=BB24_10 Depth=1
	s_or_b64 exec, exec, s[40:41]
	s_andn2_b64 s[2:3], s[36:37], exec
	s_and_b64 s[36:37], s[42:43], exec
	s_or_b64 s[36:37], s[2:3], s[36:37]
	s_andn2_b64 s[2:3], s[34:35], exec
	s_and_b64 s[0:1], s[0:1], exec
	s_or_b64 s[34:35], s[2:3], s[0:1]
.LBB24_9:                               ;   in Loop: Header=BB24_10 Depth=1
	s_or_b64 exec, exec, s[38:39]
	s_and_b64 s[0:1], exec, s[34:35]
	s_or_b64 s[22:23], s[0:1], s[22:23]
	s_andn2_b64 s[0:1], s[30:31], exec
	s_and_b64 s[2:3], s[36:37], exec
	s_or_b64 s[30:31], s[0:1], s[2:3]
	s_andn2_b64 exec, exec, s[22:23]
	s_cbranch_execz .LBB24_27
.LBB24_10:                              ; =>This Inner Loop Header: Depth=1
	v_ashrrev_i32_e32 v5, 31, v4
	v_lshlrev_b64 v[0:1], 2, v[4:5]
	v_mov_b32_e32 v12, 4
	v_add_co_u32_e32 v6, vcc, s8, v0
	v_addc_co_u32_e32 v7, vcc, v11, v1, vcc
	global_load_dword v13, v[6:7], off
	s_or_b64 s[36:37], s[36:37], exec
	s_or_b64 s[34:35], s[34:35], exec
	s_waitcnt vmcnt(0)
	v_subrev_u32_e32 v14, s12, v13
	v_cmp_lt_i32_e32 vcc, -1, v14
	v_cmp_gt_i32_e64 s[0:1], s17, v14
	s_and_b64 s[0:1], vcc, s[0:1]
	s_and_saveexec_b64 s[38:39], s[0:1]
	s_cbranch_execz .LBB24_9
; %bb.11:                               ;   in Loop: Header=BB24_10 Depth=1
	v_cmp_le_i32_e64 s[44:45], v4, v9
	v_cmp_gt_i32_e32 vcc, v4, v9
	v_mov_b32_e32 v12, 4
	s_mov_b64 s[2:3], s[44:45]
	s_and_saveexec_b64 s[40:41], vcc
	s_cbranch_execz .LBB24_13
; %bb.12:                               ;   in Loop: Header=BB24_10 Depth=1
	v_mov_b32_e32 v2, s11
	v_add_co_u32_e32 v0, vcc, s10, v0
	v_addc_co_u32_e32 v1, vcc, v2, v1, vcc
	global_load_dwordx2 v[0:1], v[0:1], off offset:-4
	v_mov_b32_e32 v12, 5
	s_waitcnt vmcnt(0)
	v_subrev_u32_e32 v2, s12, v0
	v_cmp_lt_i32_e64 s[0:1], -1, v2
	v_cmp_gt_i32_e64 s[2:3], s17, v2
	s_and_b64 s[0:1], s[0:1], s[2:3]
	v_cmp_ne_u32_e32 vcc, v1, v0
	s_xor_b64 s[0:1], s[0:1], -1
	s_or_b64 s[0:1], vcc, s[0:1]
	s_andn2_b64 s[2:3], s[44:45], exec
	s_and_b64 s[0:1], s[0:1], exec
	s_or_b64 s[2:3], s[2:3], s[0:1]
.LBB24_13:                              ;   in Loop: Header=BB24_10 Depth=1
	s_or_b64 exec, exec, s[40:41]
	s_mov_b64 s[0:1], -1
	s_mov_b64 s[42:43], -1
	s_and_saveexec_b64 s[40:41], s[2:3]
	s_cbranch_execz .LBB24_8
; %bb.14:                               ;   in Loop: Header=BB24_10 Depth=1
	v_lshlrev_b64 v[0:1], 4, v[4:5]
	v_mov_b32_e32 v2, s21
	v_add_co_u32_e32 v0, vcc, s20, v0
	v_addc_co_u32_e32 v1, vcc, v2, v1, vcc
	global_load_dwordx4 v[0:3], v[0:1], off
	v_mov_b32_e32 v12, 1
	s_mov_b64 s[2:3], -1
	s_mov_b64 s[46:47], -1
	s_waitcnt vmcnt(0)
	v_cmp_neq_f64_e32 vcc, s[28:29], v[0:1]
	v_cmp_neq_f64_e64 s[0:1], s[28:29], v[2:3]
	s_and_b64 s[0:1], vcc, s[0:1]
	s_and_saveexec_b64 s[42:43], s[0:1]
	s_cbranch_execz .LBB24_7
; %bb.15:                               ;   in Loop: Header=BB24_10 Depth=1
	v_cmp_o_f64_e32 vcc, v[0:1], v[2:3]
	v_mov_b32_e32 v12, 2
	s_mov_b64 s[0:1], -1
	s_and_saveexec_b64 s[46:47], vcc
	s_cbranch_execz .LBB24_6
; %bb.16:                               ;   in Loop: Header=BB24_10 Depth=1
	s_and_b64 vcc, exec, s[24:25]
	s_cbranch_vccz .LBB24_19
; %bb.17:                               ;   in Loop: Header=BB24_10 Depth=1
	s_and_b64 vcc, exec, s[26:27]
	s_cbranch_vccz .LBB24_20
; %bb.18:                               ;   in Loop: Header=BB24_10 Depth=1
	v_cmp_le_i32_e32 vcc, v8, v14
	s_mov_b32 s9, 7
	s_and_b64 s[2:3], vcc, exec
	s_cbranch_execz .LBB24_21
	s_branch .LBB24_22
.LBB24_19:                              ;   in Loop: Header=BB24_10 Depth=1
	s_mov_b32 s9, 2
	s_branch .LBB24_22
.LBB24_20:                              ;   in Loop: Header=BB24_10 Depth=1
	s_mov_b64 s[2:3], 0
	s_mov_b32 s9, 2
.LBB24_21:                              ;   in Loop: Header=BB24_10 Depth=1
	v_cmp_ge_i32_e32 vcc, v8, v14
	s_andn2_b64 s[2:3], s[2:3], exec
	s_and_b64 s[48:49], vcc, exec
	s_mov_b32 s9, 7
	s_or_b64 s[2:3], s[2:3], s[48:49]
.LBB24_22:                              ;   in Loop: Header=BB24_10 Depth=1
	v_mov_b32_e32 v12, s9
	s_mov_b64 s[50:51], -1
	s_and_saveexec_b64 s[48:49], s[2:3]
	s_cbranch_execz .LBB24_5
; %bb.23:                               ;   in Loop: Header=BB24_10 Depth=1
	s_nor_b64 s[2:3], s[14:15], s[44:45]
	s_mov_b64 s[44:45], -1
	v_mov_b32_e32 v12, s9
	s_and_saveexec_b64 s[50:51], s[2:3]
	s_cbranch_execz .LBB24_25
; %bb.24:                               ;   in Loop: Header=BB24_10 Depth=1
	global_load_dword v0, v[6:7], off offset:-4
	v_mov_b32_e32 v12, 6
	s_waitcnt vmcnt(0)
	v_subrev_u32_e32 v1, s12, v0
	v_cmp_lt_i32_e64 s[0:1], -1, v1
	v_cmp_gt_i32_e64 s[2:3], s17, v1
	s_and_b64 s[0:1], s[0:1], s[2:3]
	v_cmp_gt_i32_e32 vcc, v13, v0
	s_xor_b64 s[0:1], s[0:1], -1
	s_or_b64 s[0:1], vcc, s[0:1]
	s_orn2_b64 s[0:1], s[0:1], exec
.LBB24_25:                              ;   in Loop: Header=BB24_10 Depth=1
	s_or_b64 exec, exec, s[50:51]
	s_mov_b64 s[2:3], -1
	s_and_saveexec_b64 s[50:51], s[0:1]
	s_cbranch_execz .LBB24_4
; %bb.26:                               ;   in Loop: Header=BB24_10 Depth=1
	v_add_u32_e32 v4, 8, v4
	v_cmp_ge_i32_e32 vcc, v4, v10
	s_xor_b64 s[2:3], exec, -1
	s_orn2_b64 s[44:45], vcc, exec
	s_branch .LBB24_4
.LBB24_27:
	s_or_b64 exec, exec, s[22:23]
	s_and_b64 s[0:1], s[30:31], exec
.LBB24_28:
	s_or_b64 exec, exec, s[18:19]
	s_orn2_b64 s[8:9], s[0:1], exec
.LBB24_29:
	s_or_b64 exec, exec, s[6:7]
	s_and_b64 exec, exec, s[8:9]
	s_cbranch_execz .LBB24_31
; %bb.30:
	s_load_dwordx2 s[0:1], s[4:5], 0x40
	v_mov_b32_e32 v0, 0
	s_waitcnt lgkmcnt(0)
	global_store_dword v0, v12, s[0:1]
.LBB24_31:
	s_endpgm
	.section	.rodata,"a",@progbits
	.p2align	6, 0x0
	.amdhsa_kernel _ZN9rocsparseL23check_matrix_csr_deviceILj256ELj8E21rocsparse_complex_numIdEiiEEvT3_S3_T2_PKT1_PKS4_PKS3_SB_21rocsparse_index_base_22rocsparse_matrix_type_20rocsparse_fill_mode_23rocsparse_storage_mode_P22rocsparse_data_status_
		.amdhsa_group_segment_fixed_size 0
		.amdhsa_private_segment_fixed_size 0
		.amdhsa_kernarg_size 72
		.amdhsa_user_sgpr_count 6
		.amdhsa_user_sgpr_private_segment_buffer 1
		.amdhsa_user_sgpr_dispatch_ptr 0
		.amdhsa_user_sgpr_queue_ptr 0
		.amdhsa_user_sgpr_kernarg_segment_ptr 1
		.amdhsa_user_sgpr_dispatch_id 0
		.amdhsa_user_sgpr_flat_scratch_init 0
		.amdhsa_user_sgpr_private_segment_size 0
		.amdhsa_uses_dynamic_stack 0
		.amdhsa_system_sgpr_private_segment_wavefront_offset 0
		.amdhsa_system_sgpr_workgroup_id_x 1
		.amdhsa_system_sgpr_workgroup_id_y 0
		.amdhsa_system_sgpr_workgroup_id_z 0
		.amdhsa_system_sgpr_workgroup_info 0
		.amdhsa_system_vgpr_workitem_id 0
		.amdhsa_next_free_vgpr 15
		.amdhsa_next_free_sgpr 52
		.amdhsa_reserve_vcc 1
		.amdhsa_reserve_flat_scratch 0
		.amdhsa_float_round_mode_32 0
		.amdhsa_float_round_mode_16_64 0
		.amdhsa_float_denorm_mode_32 3
		.amdhsa_float_denorm_mode_16_64 3
		.amdhsa_dx10_clamp 1
		.amdhsa_ieee_mode 1
		.amdhsa_fp16_overflow 0
		.amdhsa_exception_fp_ieee_invalid_op 0
		.amdhsa_exception_fp_denorm_src 0
		.amdhsa_exception_fp_ieee_div_zero 0
		.amdhsa_exception_fp_ieee_overflow 0
		.amdhsa_exception_fp_ieee_underflow 0
		.amdhsa_exception_fp_ieee_inexact 0
		.amdhsa_exception_int_div_zero 0
	.end_amdhsa_kernel
	.section	.text._ZN9rocsparseL23check_matrix_csr_deviceILj256ELj8E21rocsparse_complex_numIdEiiEEvT3_S3_T2_PKT1_PKS4_PKS3_SB_21rocsparse_index_base_22rocsparse_matrix_type_20rocsparse_fill_mode_23rocsparse_storage_mode_P22rocsparse_data_status_,"axG",@progbits,_ZN9rocsparseL23check_matrix_csr_deviceILj256ELj8E21rocsparse_complex_numIdEiiEEvT3_S3_T2_PKT1_PKS4_PKS3_SB_21rocsparse_index_base_22rocsparse_matrix_type_20rocsparse_fill_mode_23rocsparse_storage_mode_P22rocsparse_data_status_,comdat
.Lfunc_end24:
	.size	_ZN9rocsparseL23check_matrix_csr_deviceILj256ELj8E21rocsparse_complex_numIdEiiEEvT3_S3_T2_PKT1_PKS4_PKS3_SB_21rocsparse_index_base_22rocsparse_matrix_type_20rocsparse_fill_mode_23rocsparse_storage_mode_P22rocsparse_data_status_, .Lfunc_end24-_ZN9rocsparseL23check_matrix_csr_deviceILj256ELj8E21rocsparse_complex_numIdEiiEEvT3_S3_T2_PKT1_PKS4_PKS3_SB_21rocsparse_index_base_22rocsparse_matrix_type_20rocsparse_fill_mode_23rocsparse_storage_mode_P22rocsparse_data_status_
                                        ; -- End function
	.set _ZN9rocsparseL23check_matrix_csr_deviceILj256ELj8E21rocsparse_complex_numIdEiiEEvT3_S3_T2_PKT1_PKS4_PKS3_SB_21rocsparse_index_base_22rocsparse_matrix_type_20rocsparse_fill_mode_23rocsparse_storage_mode_P22rocsparse_data_status_.num_vgpr, 15
	.set _ZN9rocsparseL23check_matrix_csr_deviceILj256ELj8E21rocsparse_complex_numIdEiiEEvT3_S3_T2_PKT1_PKS4_PKS3_SB_21rocsparse_index_base_22rocsparse_matrix_type_20rocsparse_fill_mode_23rocsparse_storage_mode_P22rocsparse_data_status_.num_agpr, 0
	.set _ZN9rocsparseL23check_matrix_csr_deviceILj256ELj8E21rocsparse_complex_numIdEiiEEvT3_S3_T2_PKT1_PKS4_PKS3_SB_21rocsparse_index_base_22rocsparse_matrix_type_20rocsparse_fill_mode_23rocsparse_storage_mode_P22rocsparse_data_status_.numbered_sgpr, 52
	.set _ZN9rocsparseL23check_matrix_csr_deviceILj256ELj8E21rocsparse_complex_numIdEiiEEvT3_S3_T2_PKT1_PKS4_PKS3_SB_21rocsparse_index_base_22rocsparse_matrix_type_20rocsparse_fill_mode_23rocsparse_storage_mode_P22rocsparse_data_status_.num_named_barrier, 0
	.set _ZN9rocsparseL23check_matrix_csr_deviceILj256ELj8E21rocsparse_complex_numIdEiiEEvT3_S3_T2_PKT1_PKS4_PKS3_SB_21rocsparse_index_base_22rocsparse_matrix_type_20rocsparse_fill_mode_23rocsparse_storage_mode_P22rocsparse_data_status_.private_seg_size, 0
	.set _ZN9rocsparseL23check_matrix_csr_deviceILj256ELj8E21rocsparse_complex_numIdEiiEEvT3_S3_T2_PKT1_PKS4_PKS3_SB_21rocsparse_index_base_22rocsparse_matrix_type_20rocsparse_fill_mode_23rocsparse_storage_mode_P22rocsparse_data_status_.uses_vcc, 1
	.set _ZN9rocsparseL23check_matrix_csr_deviceILj256ELj8E21rocsparse_complex_numIdEiiEEvT3_S3_T2_PKT1_PKS4_PKS3_SB_21rocsparse_index_base_22rocsparse_matrix_type_20rocsparse_fill_mode_23rocsparse_storage_mode_P22rocsparse_data_status_.uses_flat_scratch, 0
	.set _ZN9rocsparseL23check_matrix_csr_deviceILj256ELj8E21rocsparse_complex_numIdEiiEEvT3_S3_T2_PKT1_PKS4_PKS3_SB_21rocsparse_index_base_22rocsparse_matrix_type_20rocsparse_fill_mode_23rocsparse_storage_mode_P22rocsparse_data_status_.has_dyn_sized_stack, 0
	.set _ZN9rocsparseL23check_matrix_csr_deviceILj256ELj8E21rocsparse_complex_numIdEiiEEvT3_S3_T2_PKT1_PKS4_PKS3_SB_21rocsparse_index_base_22rocsparse_matrix_type_20rocsparse_fill_mode_23rocsparse_storage_mode_P22rocsparse_data_status_.has_recursion, 0
	.set _ZN9rocsparseL23check_matrix_csr_deviceILj256ELj8E21rocsparse_complex_numIdEiiEEvT3_S3_T2_PKT1_PKS4_PKS3_SB_21rocsparse_index_base_22rocsparse_matrix_type_20rocsparse_fill_mode_23rocsparse_storage_mode_P22rocsparse_data_status_.has_indirect_call, 0
	.section	.AMDGPU.csdata,"",@progbits
; Kernel info:
; codeLenInByte = 872
; TotalNumSgprs: 56
; NumVgprs: 15
; ScratchSize: 0
; MemoryBound: 0
; FloatMode: 240
; IeeeMode: 1
; LDSByteSize: 0 bytes/workgroup (compile time only)
; SGPRBlocks: 6
; VGPRBlocks: 3
; NumSGPRsForWavesPerEU: 56
; NumVGPRsForWavesPerEU: 15
; Occupancy: 10
; WaveLimiterHint : 0
; COMPUTE_PGM_RSRC2:SCRATCH_EN: 0
; COMPUTE_PGM_RSRC2:USER_SGPR: 6
; COMPUTE_PGM_RSRC2:TRAP_HANDLER: 0
; COMPUTE_PGM_RSRC2:TGID_X_EN: 1
; COMPUTE_PGM_RSRC2:TGID_Y_EN: 0
; COMPUTE_PGM_RSRC2:TGID_Z_EN: 0
; COMPUTE_PGM_RSRC2:TIDIG_COMP_CNT: 0
	.section	.text._ZN9rocsparseL23check_matrix_csr_deviceILj256ELj16E21rocsparse_complex_numIdEiiEEvT3_S3_T2_PKT1_PKS4_PKS3_SB_21rocsparse_index_base_22rocsparse_matrix_type_20rocsparse_fill_mode_23rocsparse_storage_mode_P22rocsparse_data_status_,"axG",@progbits,_ZN9rocsparseL23check_matrix_csr_deviceILj256ELj16E21rocsparse_complex_numIdEiiEEvT3_S3_T2_PKT1_PKS4_PKS3_SB_21rocsparse_index_base_22rocsparse_matrix_type_20rocsparse_fill_mode_23rocsparse_storage_mode_P22rocsparse_data_status_,comdat
	.globl	_ZN9rocsparseL23check_matrix_csr_deviceILj256ELj16E21rocsparse_complex_numIdEiiEEvT3_S3_T2_PKT1_PKS4_PKS3_SB_21rocsparse_index_base_22rocsparse_matrix_type_20rocsparse_fill_mode_23rocsparse_storage_mode_P22rocsparse_data_status_ ; -- Begin function _ZN9rocsparseL23check_matrix_csr_deviceILj256ELj16E21rocsparse_complex_numIdEiiEEvT3_S3_T2_PKT1_PKS4_PKS3_SB_21rocsparse_index_base_22rocsparse_matrix_type_20rocsparse_fill_mode_23rocsparse_storage_mode_P22rocsparse_data_status_
	.p2align	8
	.type	_ZN9rocsparseL23check_matrix_csr_deviceILj256ELj16E21rocsparse_complex_numIdEiiEEvT3_S3_T2_PKT1_PKS4_PKS3_SB_21rocsparse_index_base_22rocsparse_matrix_type_20rocsparse_fill_mode_23rocsparse_storage_mode_P22rocsparse_data_status_,@function
_ZN9rocsparseL23check_matrix_csr_deviceILj256ELj16E21rocsparse_complex_numIdEiiEEvT3_S3_T2_PKT1_PKS4_PKS3_SB_21rocsparse_index_base_22rocsparse_matrix_type_20rocsparse_fill_mode_23rocsparse_storage_mode_P22rocsparse_data_status_: ; @_ZN9rocsparseL23check_matrix_csr_deviceILj256ELj16E21rocsparse_complex_numIdEiiEEvT3_S3_T2_PKT1_PKS4_PKS3_SB_21rocsparse_index_base_22rocsparse_matrix_type_20rocsparse_fill_mode_23rocsparse_storage_mode_P22rocsparse_data_status_
; %bb.0:
	s_load_dwordx2 s[16:17], s[4:5], 0x0
	v_lshl_or_b32 v1, s6, 8, v0
	v_lshrrev_b32_e32 v8, 4, v1
	s_waitcnt lgkmcnt(0)
	v_cmp_gt_i32_e32 vcc, s16, v8
	s_and_saveexec_b64 s[0:1], vcc
	s_cbranch_execz .LBB25_31
; %bb.1:
	s_load_dwordx2 s[0:1], s[4:5], 0x18
	v_lshlrev_b32_e32 v1, 2, v8
	s_mov_b64 s[8:9], -1
	v_mov_b32_e32 v12, 3
	s_waitcnt lgkmcnt(0)
	global_load_dwordx2 v[1:2], v1, s[0:1]
	s_load_dword s0, s[0:1], 0x0
	s_waitcnt vmcnt(0) lgkmcnt(0)
	v_subrev_u32_e32 v10, s0, v2
	v_cmp_lt_i32_e32 vcc, v2, v1
	v_cmp_gt_i32_e64 s[2:3], 0, v10
	v_subrev_u32_e32 v9, s0, v1
	s_or_b64 s[2:3], s[2:3], vcc
	v_cmp_lt_i32_e64 s[0:1], -1, v9
	s_xor_b64 s[2:3], s[2:3], -1
	s_and_b64 s[0:1], s[0:1], s[2:3]
	s_and_saveexec_b64 s[6:7], s[0:1]
	s_cbranch_execz .LBB25_29
; %bb.2:
	v_and_b32_e32 v0, 15, v0
	v_add_u32_e32 v4, v9, v0
	v_cmp_lt_u32_e32 vcc, v4, v10
	s_mov_b64 s[0:1], 0
	v_mov_b32_e32 v12, 3
	s_and_saveexec_b64 s[18:19], vcc
	s_cbranch_execz .LBB25_28
; %bb.3:
	s_load_dwordx8 s[8:15], s[4:5], 0x20
	s_load_dwordx2 s[20:21], s[4:5], 0x10
	s_mov_b32 s28, 0
	s_mov_b64 s[22:23], 0
	s_mov_b32 s29, 0x7ff00000
	s_waitcnt lgkmcnt(0)
	s_cmp_lg_u32 s13, 0
	s_cselect_b64 s[24:25], -1, 0
	s_cmp_lg_u32 s14, 0
	s_cselect_b64 s[26:27], -1, 0
	;; [unrolled: 2-line block ×3, first 2 shown]
	v_mov_b32_e32 v11, s9
                                        ; implicit-def: $sgpr30_sgpr31
                                        ; implicit-def: $sgpr34_sgpr35
                                        ; implicit-def: $sgpr36_sgpr37
	s_branch .LBB25_10
.LBB25_4:                               ;   in Loop: Header=BB25_10 Depth=1
	s_or_b64 exec, exec, s[50:51]
	s_orn2_b64 s[50:51], s[2:3], exec
	s_orn2_b64 s[0:1], s[44:45], exec
.LBB25_5:                               ;   in Loop: Header=BB25_10 Depth=1
	s_or_b64 exec, exec, s[48:49]
	s_orn2_b64 s[2:3], s[50:51], exec
	s_orn2_b64 s[0:1], s[0:1], exec
.LBB25_6:                               ;   in Loop: Header=BB25_10 Depth=1
	s_or_b64 exec, exec, s[46:47]
	s_orn2_b64 s[46:47], s[2:3], exec
	s_orn2_b64 s[2:3], s[0:1], exec
.LBB25_7:                               ;   in Loop: Header=BB25_10 Depth=1
	s_or_b64 exec, exec, s[42:43]
	s_orn2_b64 s[42:43], s[46:47], exec
	s_orn2_b64 s[0:1], s[2:3], exec
.LBB25_8:                               ;   in Loop: Header=BB25_10 Depth=1
	s_or_b64 exec, exec, s[40:41]
	s_andn2_b64 s[2:3], s[36:37], exec
	s_and_b64 s[36:37], s[42:43], exec
	s_or_b64 s[36:37], s[2:3], s[36:37]
	s_andn2_b64 s[2:3], s[34:35], exec
	s_and_b64 s[0:1], s[0:1], exec
	s_or_b64 s[34:35], s[2:3], s[0:1]
.LBB25_9:                               ;   in Loop: Header=BB25_10 Depth=1
	s_or_b64 exec, exec, s[38:39]
	s_and_b64 s[0:1], exec, s[34:35]
	s_or_b64 s[22:23], s[0:1], s[22:23]
	s_andn2_b64 s[0:1], s[30:31], exec
	s_and_b64 s[2:3], s[36:37], exec
	s_or_b64 s[30:31], s[0:1], s[2:3]
	s_andn2_b64 exec, exec, s[22:23]
	s_cbranch_execz .LBB25_27
.LBB25_10:                              ; =>This Inner Loop Header: Depth=1
	v_ashrrev_i32_e32 v5, 31, v4
	v_lshlrev_b64 v[0:1], 2, v[4:5]
	v_mov_b32_e32 v12, 4
	v_add_co_u32_e32 v6, vcc, s8, v0
	v_addc_co_u32_e32 v7, vcc, v11, v1, vcc
	global_load_dword v13, v[6:7], off
	s_or_b64 s[36:37], s[36:37], exec
	s_or_b64 s[34:35], s[34:35], exec
	s_waitcnt vmcnt(0)
	v_subrev_u32_e32 v14, s12, v13
	v_cmp_lt_i32_e32 vcc, -1, v14
	v_cmp_gt_i32_e64 s[0:1], s17, v14
	s_and_b64 s[0:1], vcc, s[0:1]
	s_and_saveexec_b64 s[38:39], s[0:1]
	s_cbranch_execz .LBB25_9
; %bb.11:                               ;   in Loop: Header=BB25_10 Depth=1
	v_cmp_le_i32_e64 s[44:45], v4, v9
	v_cmp_gt_i32_e32 vcc, v4, v9
	v_mov_b32_e32 v12, 4
	s_mov_b64 s[2:3], s[44:45]
	s_and_saveexec_b64 s[40:41], vcc
	s_cbranch_execz .LBB25_13
; %bb.12:                               ;   in Loop: Header=BB25_10 Depth=1
	v_mov_b32_e32 v2, s11
	v_add_co_u32_e32 v0, vcc, s10, v0
	v_addc_co_u32_e32 v1, vcc, v2, v1, vcc
	global_load_dwordx2 v[0:1], v[0:1], off offset:-4
	v_mov_b32_e32 v12, 5
	s_waitcnt vmcnt(0)
	v_subrev_u32_e32 v2, s12, v0
	v_cmp_lt_i32_e64 s[0:1], -1, v2
	v_cmp_gt_i32_e64 s[2:3], s17, v2
	s_and_b64 s[0:1], s[0:1], s[2:3]
	v_cmp_ne_u32_e32 vcc, v1, v0
	s_xor_b64 s[0:1], s[0:1], -1
	s_or_b64 s[0:1], vcc, s[0:1]
	s_andn2_b64 s[2:3], s[44:45], exec
	s_and_b64 s[0:1], s[0:1], exec
	s_or_b64 s[2:3], s[2:3], s[0:1]
.LBB25_13:                              ;   in Loop: Header=BB25_10 Depth=1
	s_or_b64 exec, exec, s[40:41]
	s_mov_b64 s[0:1], -1
	s_mov_b64 s[42:43], -1
	s_and_saveexec_b64 s[40:41], s[2:3]
	s_cbranch_execz .LBB25_8
; %bb.14:                               ;   in Loop: Header=BB25_10 Depth=1
	v_lshlrev_b64 v[0:1], 4, v[4:5]
	v_mov_b32_e32 v2, s21
	v_add_co_u32_e32 v0, vcc, s20, v0
	v_addc_co_u32_e32 v1, vcc, v2, v1, vcc
	global_load_dwordx4 v[0:3], v[0:1], off
	v_mov_b32_e32 v12, 1
	s_mov_b64 s[2:3], -1
	s_mov_b64 s[46:47], -1
	s_waitcnt vmcnt(0)
	v_cmp_neq_f64_e32 vcc, s[28:29], v[0:1]
	v_cmp_neq_f64_e64 s[0:1], s[28:29], v[2:3]
	s_and_b64 s[0:1], vcc, s[0:1]
	s_and_saveexec_b64 s[42:43], s[0:1]
	s_cbranch_execz .LBB25_7
; %bb.15:                               ;   in Loop: Header=BB25_10 Depth=1
	v_cmp_o_f64_e32 vcc, v[0:1], v[2:3]
	v_mov_b32_e32 v12, 2
	s_mov_b64 s[0:1], -1
	s_and_saveexec_b64 s[46:47], vcc
	s_cbranch_execz .LBB25_6
; %bb.16:                               ;   in Loop: Header=BB25_10 Depth=1
	s_and_b64 vcc, exec, s[24:25]
	s_cbranch_vccz .LBB25_19
; %bb.17:                               ;   in Loop: Header=BB25_10 Depth=1
	s_and_b64 vcc, exec, s[26:27]
	s_cbranch_vccz .LBB25_20
; %bb.18:                               ;   in Loop: Header=BB25_10 Depth=1
	v_cmp_le_i32_e32 vcc, v8, v14
	s_mov_b32 s9, 7
	s_and_b64 s[2:3], vcc, exec
	s_cbranch_execz .LBB25_21
	s_branch .LBB25_22
.LBB25_19:                              ;   in Loop: Header=BB25_10 Depth=1
	s_mov_b32 s9, 2
	s_branch .LBB25_22
.LBB25_20:                              ;   in Loop: Header=BB25_10 Depth=1
	s_mov_b64 s[2:3], 0
	s_mov_b32 s9, 2
.LBB25_21:                              ;   in Loop: Header=BB25_10 Depth=1
	v_cmp_ge_i32_e32 vcc, v8, v14
	s_andn2_b64 s[2:3], s[2:3], exec
	s_and_b64 s[48:49], vcc, exec
	s_mov_b32 s9, 7
	s_or_b64 s[2:3], s[2:3], s[48:49]
.LBB25_22:                              ;   in Loop: Header=BB25_10 Depth=1
	v_mov_b32_e32 v12, s9
	s_mov_b64 s[50:51], -1
	s_and_saveexec_b64 s[48:49], s[2:3]
	s_cbranch_execz .LBB25_5
; %bb.23:                               ;   in Loop: Header=BB25_10 Depth=1
	s_nor_b64 s[2:3], s[14:15], s[44:45]
	s_mov_b64 s[44:45], -1
	v_mov_b32_e32 v12, s9
	s_and_saveexec_b64 s[50:51], s[2:3]
	s_cbranch_execz .LBB25_25
; %bb.24:                               ;   in Loop: Header=BB25_10 Depth=1
	global_load_dword v0, v[6:7], off offset:-4
	v_mov_b32_e32 v12, 6
	s_waitcnt vmcnt(0)
	v_subrev_u32_e32 v1, s12, v0
	v_cmp_lt_i32_e64 s[0:1], -1, v1
	v_cmp_gt_i32_e64 s[2:3], s17, v1
	s_and_b64 s[0:1], s[0:1], s[2:3]
	v_cmp_gt_i32_e32 vcc, v13, v0
	s_xor_b64 s[0:1], s[0:1], -1
	s_or_b64 s[0:1], vcc, s[0:1]
	s_orn2_b64 s[0:1], s[0:1], exec
.LBB25_25:                              ;   in Loop: Header=BB25_10 Depth=1
	s_or_b64 exec, exec, s[50:51]
	s_mov_b64 s[2:3], -1
	s_and_saveexec_b64 s[50:51], s[0:1]
	s_cbranch_execz .LBB25_4
; %bb.26:                               ;   in Loop: Header=BB25_10 Depth=1
	v_add_u32_e32 v4, 16, v4
	v_cmp_ge_i32_e32 vcc, v4, v10
	s_xor_b64 s[2:3], exec, -1
	s_orn2_b64 s[44:45], vcc, exec
	s_branch .LBB25_4
.LBB25_27:
	s_or_b64 exec, exec, s[22:23]
	s_and_b64 s[0:1], s[30:31], exec
.LBB25_28:
	s_or_b64 exec, exec, s[18:19]
	s_orn2_b64 s[8:9], s[0:1], exec
.LBB25_29:
	s_or_b64 exec, exec, s[6:7]
	s_and_b64 exec, exec, s[8:9]
	s_cbranch_execz .LBB25_31
; %bb.30:
	s_load_dwordx2 s[0:1], s[4:5], 0x40
	v_mov_b32_e32 v0, 0
	s_waitcnt lgkmcnt(0)
	global_store_dword v0, v12, s[0:1]
.LBB25_31:
	s_endpgm
	.section	.rodata,"a",@progbits
	.p2align	6, 0x0
	.amdhsa_kernel _ZN9rocsparseL23check_matrix_csr_deviceILj256ELj16E21rocsparse_complex_numIdEiiEEvT3_S3_T2_PKT1_PKS4_PKS3_SB_21rocsparse_index_base_22rocsparse_matrix_type_20rocsparse_fill_mode_23rocsparse_storage_mode_P22rocsparse_data_status_
		.amdhsa_group_segment_fixed_size 0
		.amdhsa_private_segment_fixed_size 0
		.amdhsa_kernarg_size 72
		.amdhsa_user_sgpr_count 6
		.amdhsa_user_sgpr_private_segment_buffer 1
		.amdhsa_user_sgpr_dispatch_ptr 0
		.amdhsa_user_sgpr_queue_ptr 0
		.amdhsa_user_sgpr_kernarg_segment_ptr 1
		.amdhsa_user_sgpr_dispatch_id 0
		.amdhsa_user_sgpr_flat_scratch_init 0
		.amdhsa_user_sgpr_private_segment_size 0
		.amdhsa_uses_dynamic_stack 0
		.amdhsa_system_sgpr_private_segment_wavefront_offset 0
		.amdhsa_system_sgpr_workgroup_id_x 1
		.amdhsa_system_sgpr_workgroup_id_y 0
		.amdhsa_system_sgpr_workgroup_id_z 0
		.amdhsa_system_sgpr_workgroup_info 0
		.amdhsa_system_vgpr_workitem_id 0
		.amdhsa_next_free_vgpr 15
		.amdhsa_next_free_sgpr 52
		.amdhsa_reserve_vcc 1
		.amdhsa_reserve_flat_scratch 0
		.amdhsa_float_round_mode_32 0
		.amdhsa_float_round_mode_16_64 0
		.amdhsa_float_denorm_mode_32 3
		.amdhsa_float_denorm_mode_16_64 3
		.amdhsa_dx10_clamp 1
		.amdhsa_ieee_mode 1
		.amdhsa_fp16_overflow 0
		.amdhsa_exception_fp_ieee_invalid_op 0
		.amdhsa_exception_fp_denorm_src 0
		.amdhsa_exception_fp_ieee_div_zero 0
		.amdhsa_exception_fp_ieee_overflow 0
		.amdhsa_exception_fp_ieee_underflow 0
		.amdhsa_exception_fp_ieee_inexact 0
		.amdhsa_exception_int_div_zero 0
	.end_amdhsa_kernel
	.section	.text._ZN9rocsparseL23check_matrix_csr_deviceILj256ELj16E21rocsparse_complex_numIdEiiEEvT3_S3_T2_PKT1_PKS4_PKS3_SB_21rocsparse_index_base_22rocsparse_matrix_type_20rocsparse_fill_mode_23rocsparse_storage_mode_P22rocsparse_data_status_,"axG",@progbits,_ZN9rocsparseL23check_matrix_csr_deviceILj256ELj16E21rocsparse_complex_numIdEiiEEvT3_S3_T2_PKT1_PKS4_PKS3_SB_21rocsparse_index_base_22rocsparse_matrix_type_20rocsparse_fill_mode_23rocsparse_storage_mode_P22rocsparse_data_status_,comdat
.Lfunc_end25:
	.size	_ZN9rocsparseL23check_matrix_csr_deviceILj256ELj16E21rocsparse_complex_numIdEiiEEvT3_S3_T2_PKT1_PKS4_PKS3_SB_21rocsparse_index_base_22rocsparse_matrix_type_20rocsparse_fill_mode_23rocsparse_storage_mode_P22rocsparse_data_status_, .Lfunc_end25-_ZN9rocsparseL23check_matrix_csr_deviceILj256ELj16E21rocsparse_complex_numIdEiiEEvT3_S3_T2_PKT1_PKS4_PKS3_SB_21rocsparse_index_base_22rocsparse_matrix_type_20rocsparse_fill_mode_23rocsparse_storage_mode_P22rocsparse_data_status_
                                        ; -- End function
	.set _ZN9rocsparseL23check_matrix_csr_deviceILj256ELj16E21rocsparse_complex_numIdEiiEEvT3_S3_T2_PKT1_PKS4_PKS3_SB_21rocsparse_index_base_22rocsparse_matrix_type_20rocsparse_fill_mode_23rocsparse_storage_mode_P22rocsparse_data_status_.num_vgpr, 15
	.set _ZN9rocsparseL23check_matrix_csr_deviceILj256ELj16E21rocsparse_complex_numIdEiiEEvT3_S3_T2_PKT1_PKS4_PKS3_SB_21rocsparse_index_base_22rocsparse_matrix_type_20rocsparse_fill_mode_23rocsparse_storage_mode_P22rocsparse_data_status_.num_agpr, 0
	.set _ZN9rocsparseL23check_matrix_csr_deviceILj256ELj16E21rocsparse_complex_numIdEiiEEvT3_S3_T2_PKT1_PKS4_PKS3_SB_21rocsparse_index_base_22rocsparse_matrix_type_20rocsparse_fill_mode_23rocsparse_storage_mode_P22rocsparse_data_status_.numbered_sgpr, 52
	.set _ZN9rocsparseL23check_matrix_csr_deviceILj256ELj16E21rocsparse_complex_numIdEiiEEvT3_S3_T2_PKT1_PKS4_PKS3_SB_21rocsparse_index_base_22rocsparse_matrix_type_20rocsparse_fill_mode_23rocsparse_storage_mode_P22rocsparse_data_status_.num_named_barrier, 0
	.set _ZN9rocsparseL23check_matrix_csr_deviceILj256ELj16E21rocsparse_complex_numIdEiiEEvT3_S3_T2_PKT1_PKS4_PKS3_SB_21rocsparse_index_base_22rocsparse_matrix_type_20rocsparse_fill_mode_23rocsparse_storage_mode_P22rocsparse_data_status_.private_seg_size, 0
	.set _ZN9rocsparseL23check_matrix_csr_deviceILj256ELj16E21rocsparse_complex_numIdEiiEEvT3_S3_T2_PKT1_PKS4_PKS3_SB_21rocsparse_index_base_22rocsparse_matrix_type_20rocsparse_fill_mode_23rocsparse_storage_mode_P22rocsparse_data_status_.uses_vcc, 1
	.set _ZN9rocsparseL23check_matrix_csr_deviceILj256ELj16E21rocsparse_complex_numIdEiiEEvT3_S3_T2_PKT1_PKS4_PKS3_SB_21rocsparse_index_base_22rocsparse_matrix_type_20rocsparse_fill_mode_23rocsparse_storage_mode_P22rocsparse_data_status_.uses_flat_scratch, 0
	.set _ZN9rocsparseL23check_matrix_csr_deviceILj256ELj16E21rocsparse_complex_numIdEiiEEvT3_S3_T2_PKT1_PKS4_PKS3_SB_21rocsparse_index_base_22rocsparse_matrix_type_20rocsparse_fill_mode_23rocsparse_storage_mode_P22rocsparse_data_status_.has_dyn_sized_stack, 0
	.set _ZN9rocsparseL23check_matrix_csr_deviceILj256ELj16E21rocsparse_complex_numIdEiiEEvT3_S3_T2_PKT1_PKS4_PKS3_SB_21rocsparse_index_base_22rocsparse_matrix_type_20rocsparse_fill_mode_23rocsparse_storage_mode_P22rocsparse_data_status_.has_recursion, 0
	.set _ZN9rocsparseL23check_matrix_csr_deviceILj256ELj16E21rocsparse_complex_numIdEiiEEvT3_S3_T2_PKT1_PKS4_PKS3_SB_21rocsparse_index_base_22rocsparse_matrix_type_20rocsparse_fill_mode_23rocsparse_storage_mode_P22rocsparse_data_status_.has_indirect_call, 0
	.section	.AMDGPU.csdata,"",@progbits
; Kernel info:
; codeLenInByte = 872
; TotalNumSgprs: 56
; NumVgprs: 15
; ScratchSize: 0
; MemoryBound: 0
; FloatMode: 240
; IeeeMode: 1
; LDSByteSize: 0 bytes/workgroup (compile time only)
; SGPRBlocks: 6
; VGPRBlocks: 3
; NumSGPRsForWavesPerEU: 56
; NumVGPRsForWavesPerEU: 15
; Occupancy: 10
; WaveLimiterHint : 0
; COMPUTE_PGM_RSRC2:SCRATCH_EN: 0
; COMPUTE_PGM_RSRC2:USER_SGPR: 6
; COMPUTE_PGM_RSRC2:TRAP_HANDLER: 0
; COMPUTE_PGM_RSRC2:TGID_X_EN: 1
; COMPUTE_PGM_RSRC2:TGID_Y_EN: 0
; COMPUTE_PGM_RSRC2:TGID_Z_EN: 0
; COMPUTE_PGM_RSRC2:TIDIG_COMP_CNT: 0
	.section	.text._ZN9rocsparseL23check_matrix_csr_deviceILj256ELj32E21rocsparse_complex_numIdEiiEEvT3_S3_T2_PKT1_PKS4_PKS3_SB_21rocsparse_index_base_22rocsparse_matrix_type_20rocsparse_fill_mode_23rocsparse_storage_mode_P22rocsparse_data_status_,"axG",@progbits,_ZN9rocsparseL23check_matrix_csr_deviceILj256ELj32E21rocsparse_complex_numIdEiiEEvT3_S3_T2_PKT1_PKS4_PKS3_SB_21rocsparse_index_base_22rocsparse_matrix_type_20rocsparse_fill_mode_23rocsparse_storage_mode_P22rocsparse_data_status_,comdat
	.globl	_ZN9rocsparseL23check_matrix_csr_deviceILj256ELj32E21rocsparse_complex_numIdEiiEEvT3_S3_T2_PKT1_PKS4_PKS3_SB_21rocsparse_index_base_22rocsparse_matrix_type_20rocsparse_fill_mode_23rocsparse_storage_mode_P22rocsparse_data_status_ ; -- Begin function _ZN9rocsparseL23check_matrix_csr_deviceILj256ELj32E21rocsparse_complex_numIdEiiEEvT3_S3_T2_PKT1_PKS4_PKS3_SB_21rocsparse_index_base_22rocsparse_matrix_type_20rocsparse_fill_mode_23rocsparse_storage_mode_P22rocsparse_data_status_
	.p2align	8
	.type	_ZN9rocsparseL23check_matrix_csr_deviceILj256ELj32E21rocsparse_complex_numIdEiiEEvT3_S3_T2_PKT1_PKS4_PKS3_SB_21rocsparse_index_base_22rocsparse_matrix_type_20rocsparse_fill_mode_23rocsparse_storage_mode_P22rocsparse_data_status_,@function
_ZN9rocsparseL23check_matrix_csr_deviceILj256ELj32E21rocsparse_complex_numIdEiiEEvT3_S3_T2_PKT1_PKS4_PKS3_SB_21rocsparse_index_base_22rocsparse_matrix_type_20rocsparse_fill_mode_23rocsparse_storage_mode_P22rocsparse_data_status_: ; @_ZN9rocsparseL23check_matrix_csr_deviceILj256ELj32E21rocsparse_complex_numIdEiiEEvT3_S3_T2_PKT1_PKS4_PKS3_SB_21rocsparse_index_base_22rocsparse_matrix_type_20rocsparse_fill_mode_23rocsparse_storage_mode_P22rocsparse_data_status_
; %bb.0:
	s_load_dwordx2 s[16:17], s[4:5], 0x0
	v_lshl_or_b32 v1, s6, 8, v0
	v_lshrrev_b32_e32 v8, 5, v1
	s_waitcnt lgkmcnt(0)
	v_cmp_gt_i32_e32 vcc, s16, v8
	s_and_saveexec_b64 s[0:1], vcc
	s_cbranch_execz .LBB26_31
; %bb.1:
	s_load_dwordx2 s[0:1], s[4:5], 0x18
	v_lshlrev_b32_e32 v1, 2, v8
	s_mov_b64 s[8:9], -1
	v_mov_b32_e32 v12, 3
	s_waitcnt lgkmcnt(0)
	global_load_dwordx2 v[1:2], v1, s[0:1]
	s_load_dword s0, s[0:1], 0x0
	s_waitcnt vmcnt(0) lgkmcnt(0)
	v_subrev_u32_e32 v10, s0, v2
	v_cmp_lt_i32_e32 vcc, v2, v1
	v_cmp_gt_i32_e64 s[2:3], 0, v10
	v_subrev_u32_e32 v9, s0, v1
	s_or_b64 s[2:3], s[2:3], vcc
	v_cmp_lt_i32_e64 s[0:1], -1, v9
	s_xor_b64 s[2:3], s[2:3], -1
	s_and_b64 s[0:1], s[0:1], s[2:3]
	s_and_saveexec_b64 s[6:7], s[0:1]
	s_cbranch_execz .LBB26_29
; %bb.2:
	v_and_b32_e32 v0, 31, v0
	v_add_u32_e32 v4, v9, v0
	v_cmp_lt_u32_e32 vcc, v4, v10
	s_mov_b64 s[0:1], 0
	v_mov_b32_e32 v12, 3
	s_and_saveexec_b64 s[18:19], vcc
	s_cbranch_execz .LBB26_28
; %bb.3:
	s_load_dwordx8 s[8:15], s[4:5], 0x20
	s_load_dwordx2 s[20:21], s[4:5], 0x10
	s_mov_b32 s28, 0
	s_mov_b64 s[22:23], 0
	s_mov_b32 s29, 0x7ff00000
	s_waitcnt lgkmcnt(0)
	s_cmp_lg_u32 s13, 0
	s_cselect_b64 s[24:25], -1, 0
	s_cmp_lg_u32 s14, 0
	s_cselect_b64 s[26:27], -1, 0
	;; [unrolled: 2-line block ×3, first 2 shown]
	v_mov_b32_e32 v11, s9
                                        ; implicit-def: $sgpr30_sgpr31
                                        ; implicit-def: $sgpr34_sgpr35
                                        ; implicit-def: $sgpr36_sgpr37
	s_branch .LBB26_10
.LBB26_4:                               ;   in Loop: Header=BB26_10 Depth=1
	s_or_b64 exec, exec, s[50:51]
	s_orn2_b64 s[50:51], s[2:3], exec
	s_orn2_b64 s[0:1], s[44:45], exec
.LBB26_5:                               ;   in Loop: Header=BB26_10 Depth=1
	s_or_b64 exec, exec, s[48:49]
	s_orn2_b64 s[2:3], s[50:51], exec
	s_orn2_b64 s[0:1], s[0:1], exec
.LBB26_6:                               ;   in Loop: Header=BB26_10 Depth=1
	s_or_b64 exec, exec, s[46:47]
	s_orn2_b64 s[46:47], s[2:3], exec
	s_orn2_b64 s[2:3], s[0:1], exec
.LBB26_7:                               ;   in Loop: Header=BB26_10 Depth=1
	s_or_b64 exec, exec, s[42:43]
	s_orn2_b64 s[42:43], s[46:47], exec
	s_orn2_b64 s[0:1], s[2:3], exec
.LBB26_8:                               ;   in Loop: Header=BB26_10 Depth=1
	s_or_b64 exec, exec, s[40:41]
	s_andn2_b64 s[2:3], s[36:37], exec
	s_and_b64 s[36:37], s[42:43], exec
	s_or_b64 s[36:37], s[2:3], s[36:37]
	s_andn2_b64 s[2:3], s[34:35], exec
	s_and_b64 s[0:1], s[0:1], exec
	s_or_b64 s[34:35], s[2:3], s[0:1]
.LBB26_9:                               ;   in Loop: Header=BB26_10 Depth=1
	s_or_b64 exec, exec, s[38:39]
	s_and_b64 s[0:1], exec, s[34:35]
	s_or_b64 s[22:23], s[0:1], s[22:23]
	s_andn2_b64 s[0:1], s[30:31], exec
	s_and_b64 s[2:3], s[36:37], exec
	s_or_b64 s[30:31], s[0:1], s[2:3]
	s_andn2_b64 exec, exec, s[22:23]
	s_cbranch_execz .LBB26_27
.LBB26_10:                              ; =>This Inner Loop Header: Depth=1
	v_ashrrev_i32_e32 v5, 31, v4
	v_lshlrev_b64 v[0:1], 2, v[4:5]
	v_mov_b32_e32 v12, 4
	v_add_co_u32_e32 v6, vcc, s8, v0
	v_addc_co_u32_e32 v7, vcc, v11, v1, vcc
	global_load_dword v13, v[6:7], off
	s_or_b64 s[36:37], s[36:37], exec
	s_or_b64 s[34:35], s[34:35], exec
	s_waitcnt vmcnt(0)
	v_subrev_u32_e32 v14, s12, v13
	v_cmp_lt_i32_e32 vcc, -1, v14
	v_cmp_gt_i32_e64 s[0:1], s17, v14
	s_and_b64 s[0:1], vcc, s[0:1]
	s_and_saveexec_b64 s[38:39], s[0:1]
	s_cbranch_execz .LBB26_9
; %bb.11:                               ;   in Loop: Header=BB26_10 Depth=1
	v_cmp_le_i32_e64 s[44:45], v4, v9
	v_cmp_gt_i32_e32 vcc, v4, v9
	v_mov_b32_e32 v12, 4
	s_mov_b64 s[2:3], s[44:45]
	s_and_saveexec_b64 s[40:41], vcc
	s_cbranch_execz .LBB26_13
; %bb.12:                               ;   in Loop: Header=BB26_10 Depth=1
	v_mov_b32_e32 v2, s11
	v_add_co_u32_e32 v0, vcc, s10, v0
	v_addc_co_u32_e32 v1, vcc, v2, v1, vcc
	global_load_dwordx2 v[0:1], v[0:1], off offset:-4
	v_mov_b32_e32 v12, 5
	s_waitcnt vmcnt(0)
	v_subrev_u32_e32 v2, s12, v0
	v_cmp_lt_i32_e64 s[0:1], -1, v2
	v_cmp_gt_i32_e64 s[2:3], s17, v2
	s_and_b64 s[0:1], s[0:1], s[2:3]
	v_cmp_ne_u32_e32 vcc, v1, v0
	s_xor_b64 s[0:1], s[0:1], -1
	s_or_b64 s[0:1], vcc, s[0:1]
	s_andn2_b64 s[2:3], s[44:45], exec
	s_and_b64 s[0:1], s[0:1], exec
	s_or_b64 s[2:3], s[2:3], s[0:1]
.LBB26_13:                              ;   in Loop: Header=BB26_10 Depth=1
	s_or_b64 exec, exec, s[40:41]
	s_mov_b64 s[0:1], -1
	s_mov_b64 s[42:43], -1
	s_and_saveexec_b64 s[40:41], s[2:3]
	s_cbranch_execz .LBB26_8
; %bb.14:                               ;   in Loop: Header=BB26_10 Depth=1
	v_lshlrev_b64 v[0:1], 4, v[4:5]
	v_mov_b32_e32 v2, s21
	v_add_co_u32_e32 v0, vcc, s20, v0
	v_addc_co_u32_e32 v1, vcc, v2, v1, vcc
	global_load_dwordx4 v[0:3], v[0:1], off
	v_mov_b32_e32 v12, 1
	s_mov_b64 s[2:3], -1
	s_mov_b64 s[46:47], -1
	s_waitcnt vmcnt(0)
	v_cmp_neq_f64_e32 vcc, s[28:29], v[0:1]
	v_cmp_neq_f64_e64 s[0:1], s[28:29], v[2:3]
	s_and_b64 s[0:1], vcc, s[0:1]
	s_and_saveexec_b64 s[42:43], s[0:1]
	s_cbranch_execz .LBB26_7
; %bb.15:                               ;   in Loop: Header=BB26_10 Depth=1
	v_cmp_o_f64_e32 vcc, v[0:1], v[2:3]
	v_mov_b32_e32 v12, 2
	s_mov_b64 s[0:1], -1
	s_and_saveexec_b64 s[46:47], vcc
	s_cbranch_execz .LBB26_6
; %bb.16:                               ;   in Loop: Header=BB26_10 Depth=1
	s_and_b64 vcc, exec, s[24:25]
	s_cbranch_vccz .LBB26_19
; %bb.17:                               ;   in Loop: Header=BB26_10 Depth=1
	s_and_b64 vcc, exec, s[26:27]
	s_cbranch_vccz .LBB26_20
; %bb.18:                               ;   in Loop: Header=BB26_10 Depth=1
	v_cmp_le_i32_e32 vcc, v8, v14
	s_mov_b32 s9, 7
	s_and_b64 s[2:3], vcc, exec
	s_cbranch_execz .LBB26_21
	s_branch .LBB26_22
.LBB26_19:                              ;   in Loop: Header=BB26_10 Depth=1
	s_mov_b32 s9, 2
	s_branch .LBB26_22
.LBB26_20:                              ;   in Loop: Header=BB26_10 Depth=1
	s_mov_b64 s[2:3], 0
	s_mov_b32 s9, 2
.LBB26_21:                              ;   in Loop: Header=BB26_10 Depth=1
	v_cmp_ge_i32_e32 vcc, v8, v14
	s_andn2_b64 s[2:3], s[2:3], exec
	s_and_b64 s[48:49], vcc, exec
	s_mov_b32 s9, 7
	s_or_b64 s[2:3], s[2:3], s[48:49]
.LBB26_22:                              ;   in Loop: Header=BB26_10 Depth=1
	v_mov_b32_e32 v12, s9
	s_mov_b64 s[50:51], -1
	s_and_saveexec_b64 s[48:49], s[2:3]
	s_cbranch_execz .LBB26_5
; %bb.23:                               ;   in Loop: Header=BB26_10 Depth=1
	s_nor_b64 s[2:3], s[14:15], s[44:45]
	s_mov_b64 s[44:45], -1
	v_mov_b32_e32 v12, s9
	s_and_saveexec_b64 s[50:51], s[2:3]
	s_cbranch_execz .LBB26_25
; %bb.24:                               ;   in Loop: Header=BB26_10 Depth=1
	global_load_dword v0, v[6:7], off offset:-4
	v_mov_b32_e32 v12, 6
	s_waitcnt vmcnt(0)
	v_subrev_u32_e32 v1, s12, v0
	v_cmp_lt_i32_e64 s[0:1], -1, v1
	v_cmp_gt_i32_e64 s[2:3], s17, v1
	s_and_b64 s[0:1], s[0:1], s[2:3]
	v_cmp_gt_i32_e32 vcc, v13, v0
	s_xor_b64 s[0:1], s[0:1], -1
	s_or_b64 s[0:1], vcc, s[0:1]
	s_orn2_b64 s[0:1], s[0:1], exec
.LBB26_25:                              ;   in Loop: Header=BB26_10 Depth=1
	s_or_b64 exec, exec, s[50:51]
	s_mov_b64 s[2:3], -1
	s_and_saveexec_b64 s[50:51], s[0:1]
	s_cbranch_execz .LBB26_4
; %bb.26:                               ;   in Loop: Header=BB26_10 Depth=1
	v_add_u32_e32 v4, 32, v4
	v_cmp_ge_i32_e32 vcc, v4, v10
	s_xor_b64 s[2:3], exec, -1
	s_orn2_b64 s[44:45], vcc, exec
	s_branch .LBB26_4
.LBB26_27:
	s_or_b64 exec, exec, s[22:23]
	s_and_b64 s[0:1], s[30:31], exec
.LBB26_28:
	s_or_b64 exec, exec, s[18:19]
	s_orn2_b64 s[8:9], s[0:1], exec
.LBB26_29:
	s_or_b64 exec, exec, s[6:7]
	s_and_b64 exec, exec, s[8:9]
	s_cbranch_execz .LBB26_31
; %bb.30:
	s_load_dwordx2 s[0:1], s[4:5], 0x40
	v_mov_b32_e32 v0, 0
	s_waitcnt lgkmcnt(0)
	global_store_dword v0, v12, s[0:1]
.LBB26_31:
	s_endpgm
	.section	.rodata,"a",@progbits
	.p2align	6, 0x0
	.amdhsa_kernel _ZN9rocsparseL23check_matrix_csr_deviceILj256ELj32E21rocsparse_complex_numIdEiiEEvT3_S3_T2_PKT1_PKS4_PKS3_SB_21rocsparse_index_base_22rocsparse_matrix_type_20rocsparse_fill_mode_23rocsparse_storage_mode_P22rocsparse_data_status_
		.amdhsa_group_segment_fixed_size 0
		.amdhsa_private_segment_fixed_size 0
		.amdhsa_kernarg_size 72
		.amdhsa_user_sgpr_count 6
		.amdhsa_user_sgpr_private_segment_buffer 1
		.amdhsa_user_sgpr_dispatch_ptr 0
		.amdhsa_user_sgpr_queue_ptr 0
		.amdhsa_user_sgpr_kernarg_segment_ptr 1
		.amdhsa_user_sgpr_dispatch_id 0
		.amdhsa_user_sgpr_flat_scratch_init 0
		.amdhsa_user_sgpr_private_segment_size 0
		.amdhsa_uses_dynamic_stack 0
		.amdhsa_system_sgpr_private_segment_wavefront_offset 0
		.amdhsa_system_sgpr_workgroup_id_x 1
		.amdhsa_system_sgpr_workgroup_id_y 0
		.amdhsa_system_sgpr_workgroup_id_z 0
		.amdhsa_system_sgpr_workgroup_info 0
		.amdhsa_system_vgpr_workitem_id 0
		.amdhsa_next_free_vgpr 15
		.amdhsa_next_free_sgpr 52
		.amdhsa_reserve_vcc 1
		.amdhsa_reserve_flat_scratch 0
		.amdhsa_float_round_mode_32 0
		.amdhsa_float_round_mode_16_64 0
		.amdhsa_float_denorm_mode_32 3
		.amdhsa_float_denorm_mode_16_64 3
		.amdhsa_dx10_clamp 1
		.amdhsa_ieee_mode 1
		.amdhsa_fp16_overflow 0
		.amdhsa_exception_fp_ieee_invalid_op 0
		.amdhsa_exception_fp_denorm_src 0
		.amdhsa_exception_fp_ieee_div_zero 0
		.amdhsa_exception_fp_ieee_overflow 0
		.amdhsa_exception_fp_ieee_underflow 0
		.amdhsa_exception_fp_ieee_inexact 0
		.amdhsa_exception_int_div_zero 0
	.end_amdhsa_kernel
	.section	.text._ZN9rocsparseL23check_matrix_csr_deviceILj256ELj32E21rocsparse_complex_numIdEiiEEvT3_S3_T2_PKT1_PKS4_PKS3_SB_21rocsparse_index_base_22rocsparse_matrix_type_20rocsparse_fill_mode_23rocsparse_storage_mode_P22rocsparse_data_status_,"axG",@progbits,_ZN9rocsparseL23check_matrix_csr_deviceILj256ELj32E21rocsparse_complex_numIdEiiEEvT3_S3_T2_PKT1_PKS4_PKS3_SB_21rocsparse_index_base_22rocsparse_matrix_type_20rocsparse_fill_mode_23rocsparse_storage_mode_P22rocsparse_data_status_,comdat
.Lfunc_end26:
	.size	_ZN9rocsparseL23check_matrix_csr_deviceILj256ELj32E21rocsparse_complex_numIdEiiEEvT3_S3_T2_PKT1_PKS4_PKS3_SB_21rocsparse_index_base_22rocsparse_matrix_type_20rocsparse_fill_mode_23rocsparse_storage_mode_P22rocsparse_data_status_, .Lfunc_end26-_ZN9rocsparseL23check_matrix_csr_deviceILj256ELj32E21rocsparse_complex_numIdEiiEEvT3_S3_T2_PKT1_PKS4_PKS3_SB_21rocsparse_index_base_22rocsparse_matrix_type_20rocsparse_fill_mode_23rocsparse_storage_mode_P22rocsparse_data_status_
                                        ; -- End function
	.set _ZN9rocsparseL23check_matrix_csr_deviceILj256ELj32E21rocsparse_complex_numIdEiiEEvT3_S3_T2_PKT1_PKS4_PKS3_SB_21rocsparse_index_base_22rocsparse_matrix_type_20rocsparse_fill_mode_23rocsparse_storage_mode_P22rocsparse_data_status_.num_vgpr, 15
	.set _ZN9rocsparseL23check_matrix_csr_deviceILj256ELj32E21rocsparse_complex_numIdEiiEEvT3_S3_T2_PKT1_PKS4_PKS3_SB_21rocsparse_index_base_22rocsparse_matrix_type_20rocsparse_fill_mode_23rocsparse_storage_mode_P22rocsparse_data_status_.num_agpr, 0
	.set _ZN9rocsparseL23check_matrix_csr_deviceILj256ELj32E21rocsparse_complex_numIdEiiEEvT3_S3_T2_PKT1_PKS4_PKS3_SB_21rocsparse_index_base_22rocsparse_matrix_type_20rocsparse_fill_mode_23rocsparse_storage_mode_P22rocsparse_data_status_.numbered_sgpr, 52
	.set _ZN9rocsparseL23check_matrix_csr_deviceILj256ELj32E21rocsparse_complex_numIdEiiEEvT3_S3_T2_PKT1_PKS4_PKS3_SB_21rocsparse_index_base_22rocsparse_matrix_type_20rocsparse_fill_mode_23rocsparse_storage_mode_P22rocsparse_data_status_.num_named_barrier, 0
	.set _ZN9rocsparseL23check_matrix_csr_deviceILj256ELj32E21rocsparse_complex_numIdEiiEEvT3_S3_T2_PKT1_PKS4_PKS3_SB_21rocsparse_index_base_22rocsparse_matrix_type_20rocsparse_fill_mode_23rocsparse_storage_mode_P22rocsparse_data_status_.private_seg_size, 0
	.set _ZN9rocsparseL23check_matrix_csr_deviceILj256ELj32E21rocsparse_complex_numIdEiiEEvT3_S3_T2_PKT1_PKS4_PKS3_SB_21rocsparse_index_base_22rocsparse_matrix_type_20rocsparse_fill_mode_23rocsparse_storage_mode_P22rocsparse_data_status_.uses_vcc, 1
	.set _ZN9rocsparseL23check_matrix_csr_deviceILj256ELj32E21rocsparse_complex_numIdEiiEEvT3_S3_T2_PKT1_PKS4_PKS3_SB_21rocsparse_index_base_22rocsparse_matrix_type_20rocsparse_fill_mode_23rocsparse_storage_mode_P22rocsparse_data_status_.uses_flat_scratch, 0
	.set _ZN9rocsparseL23check_matrix_csr_deviceILj256ELj32E21rocsparse_complex_numIdEiiEEvT3_S3_T2_PKT1_PKS4_PKS3_SB_21rocsparse_index_base_22rocsparse_matrix_type_20rocsparse_fill_mode_23rocsparse_storage_mode_P22rocsparse_data_status_.has_dyn_sized_stack, 0
	.set _ZN9rocsparseL23check_matrix_csr_deviceILj256ELj32E21rocsparse_complex_numIdEiiEEvT3_S3_T2_PKT1_PKS4_PKS3_SB_21rocsparse_index_base_22rocsparse_matrix_type_20rocsparse_fill_mode_23rocsparse_storage_mode_P22rocsparse_data_status_.has_recursion, 0
	.set _ZN9rocsparseL23check_matrix_csr_deviceILj256ELj32E21rocsparse_complex_numIdEiiEEvT3_S3_T2_PKT1_PKS4_PKS3_SB_21rocsparse_index_base_22rocsparse_matrix_type_20rocsparse_fill_mode_23rocsparse_storage_mode_P22rocsparse_data_status_.has_indirect_call, 0
	.section	.AMDGPU.csdata,"",@progbits
; Kernel info:
; codeLenInByte = 872
; TotalNumSgprs: 56
; NumVgprs: 15
; ScratchSize: 0
; MemoryBound: 0
; FloatMode: 240
; IeeeMode: 1
; LDSByteSize: 0 bytes/workgroup (compile time only)
; SGPRBlocks: 6
; VGPRBlocks: 3
; NumSGPRsForWavesPerEU: 56
; NumVGPRsForWavesPerEU: 15
; Occupancy: 10
; WaveLimiterHint : 0
; COMPUTE_PGM_RSRC2:SCRATCH_EN: 0
; COMPUTE_PGM_RSRC2:USER_SGPR: 6
; COMPUTE_PGM_RSRC2:TRAP_HANDLER: 0
; COMPUTE_PGM_RSRC2:TGID_X_EN: 1
; COMPUTE_PGM_RSRC2:TGID_Y_EN: 0
; COMPUTE_PGM_RSRC2:TGID_Z_EN: 0
; COMPUTE_PGM_RSRC2:TIDIG_COMP_CNT: 0
	.section	.text._ZN9rocsparseL23check_matrix_csr_deviceILj256ELj64E21rocsparse_complex_numIdEiiEEvT3_S3_T2_PKT1_PKS4_PKS3_SB_21rocsparse_index_base_22rocsparse_matrix_type_20rocsparse_fill_mode_23rocsparse_storage_mode_P22rocsparse_data_status_,"axG",@progbits,_ZN9rocsparseL23check_matrix_csr_deviceILj256ELj64E21rocsparse_complex_numIdEiiEEvT3_S3_T2_PKT1_PKS4_PKS3_SB_21rocsparse_index_base_22rocsparse_matrix_type_20rocsparse_fill_mode_23rocsparse_storage_mode_P22rocsparse_data_status_,comdat
	.globl	_ZN9rocsparseL23check_matrix_csr_deviceILj256ELj64E21rocsparse_complex_numIdEiiEEvT3_S3_T2_PKT1_PKS4_PKS3_SB_21rocsparse_index_base_22rocsparse_matrix_type_20rocsparse_fill_mode_23rocsparse_storage_mode_P22rocsparse_data_status_ ; -- Begin function _ZN9rocsparseL23check_matrix_csr_deviceILj256ELj64E21rocsparse_complex_numIdEiiEEvT3_S3_T2_PKT1_PKS4_PKS3_SB_21rocsparse_index_base_22rocsparse_matrix_type_20rocsparse_fill_mode_23rocsparse_storage_mode_P22rocsparse_data_status_
	.p2align	8
	.type	_ZN9rocsparseL23check_matrix_csr_deviceILj256ELj64E21rocsparse_complex_numIdEiiEEvT3_S3_T2_PKT1_PKS4_PKS3_SB_21rocsparse_index_base_22rocsparse_matrix_type_20rocsparse_fill_mode_23rocsparse_storage_mode_P22rocsparse_data_status_,@function
_ZN9rocsparseL23check_matrix_csr_deviceILj256ELj64E21rocsparse_complex_numIdEiiEEvT3_S3_T2_PKT1_PKS4_PKS3_SB_21rocsparse_index_base_22rocsparse_matrix_type_20rocsparse_fill_mode_23rocsparse_storage_mode_P22rocsparse_data_status_: ; @_ZN9rocsparseL23check_matrix_csr_deviceILj256ELj64E21rocsparse_complex_numIdEiiEEvT3_S3_T2_PKT1_PKS4_PKS3_SB_21rocsparse_index_base_22rocsparse_matrix_type_20rocsparse_fill_mode_23rocsparse_storage_mode_P22rocsparse_data_status_
; %bb.0:
	s_load_dwordx2 s[16:17], s[4:5], 0x0
	v_lshl_or_b32 v1, s6, 8, v0
	v_lshrrev_b32_e32 v8, 6, v1
	s_waitcnt lgkmcnt(0)
	v_cmp_gt_i32_e32 vcc, s16, v8
	s_and_saveexec_b64 s[0:1], vcc
	s_cbranch_execz .LBB27_31
; %bb.1:
	s_load_dwordx2 s[0:1], s[4:5], 0x18
	v_lshlrev_b32_e32 v1, 2, v8
	s_mov_b64 s[8:9], -1
	v_mov_b32_e32 v12, 3
	s_waitcnt lgkmcnt(0)
	global_load_dwordx2 v[1:2], v1, s[0:1]
	s_load_dword s0, s[0:1], 0x0
	s_waitcnt vmcnt(0) lgkmcnt(0)
	v_subrev_u32_e32 v10, s0, v2
	v_cmp_lt_i32_e32 vcc, v2, v1
	v_cmp_gt_i32_e64 s[2:3], 0, v10
	v_subrev_u32_e32 v9, s0, v1
	s_or_b64 s[2:3], s[2:3], vcc
	v_cmp_lt_i32_e64 s[0:1], -1, v9
	s_xor_b64 s[2:3], s[2:3], -1
	s_and_b64 s[0:1], s[0:1], s[2:3]
	s_and_saveexec_b64 s[6:7], s[0:1]
	s_cbranch_execz .LBB27_29
; %bb.2:
	v_and_b32_e32 v0, 63, v0
	v_add_u32_e32 v4, v9, v0
	v_cmp_lt_u32_e32 vcc, v4, v10
	s_mov_b64 s[0:1], 0
	v_mov_b32_e32 v12, 3
	s_and_saveexec_b64 s[18:19], vcc
	s_cbranch_execz .LBB27_28
; %bb.3:
	s_load_dwordx8 s[8:15], s[4:5], 0x20
	s_load_dwordx2 s[20:21], s[4:5], 0x10
	s_mov_b32 s28, 0
	s_mov_b64 s[22:23], 0
	s_mov_b32 s29, 0x7ff00000
	s_waitcnt lgkmcnt(0)
	s_cmp_lg_u32 s13, 0
	s_cselect_b64 s[24:25], -1, 0
	s_cmp_lg_u32 s14, 0
	s_cselect_b64 s[26:27], -1, 0
	;; [unrolled: 2-line block ×3, first 2 shown]
	v_mov_b32_e32 v11, s9
                                        ; implicit-def: $sgpr30_sgpr31
                                        ; implicit-def: $sgpr34_sgpr35
                                        ; implicit-def: $sgpr36_sgpr37
	s_branch .LBB27_10
.LBB27_4:                               ;   in Loop: Header=BB27_10 Depth=1
	s_or_b64 exec, exec, s[50:51]
	s_orn2_b64 s[50:51], s[2:3], exec
	s_orn2_b64 s[0:1], s[44:45], exec
.LBB27_5:                               ;   in Loop: Header=BB27_10 Depth=1
	s_or_b64 exec, exec, s[48:49]
	s_orn2_b64 s[2:3], s[50:51], exec
	s_orn2_b64 s[0:1], s[0:1], exec
.LBB27_6:                               ;   in Loop: Header=BB27_10 Depth=1
	s_or_b64 exec, exec, s[46:47]
	s_orn2_b64 s[46:47], s[2:3], exec
	s_orn2_b64 s[2:3], s[0:1], exec
.LBB27_7:                               ;   in Loop: Header=BB27_10 Depth=1
	s_or_b64 exec, exec, s[42:43]
	s_orn2_b64 s[42:43], s[46:47], exec
	s_orn2_b64 s[0:1], s[2:3], exec
.LBB27_8:                               ;   in Loop: Header=BB27_10 Depth=1
	s_or_b64 exec, exec, s[40:41]
	s_andn2_b64 s[2:3], s[36:37], exec
	s_and_b64 s[36:37], s[42:43], exec
	s_or_b64 s[36:37], s[2:3], s[36:37]
	s_andn2_b64 s[2:3], s[34:35], exec
	s_and_b64 s[0:1], s[0:1], exec
	s_or_b64 s[34:35], s[2:3], s[0:1]
.LBB27_9:                               ;   in Loop: Header=BB27_10 Depth=1
	s_or_b64 exec, exec, s[38:39]
	s_and_b64 s[0:1], exec, s[34:35]
	s_or_b64 s[22:23], s[0:1], s[22:23]
	s_andn2_b64 s[0:1], s[30:31], exec
	s_and_b64 s[2:3], s[36:37], exec
	s_or_b64 s[30:31], s[0:1], s[2:3]
	s_andn2_b64 exec, exec, s[22:23]
	s_cbranch_execz .LBB27_27
.LBB27_10:                              ; =>This Inner Loop Header: Depth=1
	v_ashrrev_i32_e32 v5, 31, v4
	v_lshlrev_b64 v[0:1], 2, v[4:5]
	v_mov_b32_e32 v12, 4
	v_add_co_u32_e32 v6, vcc, s8, v0
	v_addc_co_u32_e32 v7, vcc, v11, v1, vcc
	global_load_dword v13, v[6:7], off
	s_or_b64 s[36:37], s[36:37], exec
	s_or_b64 s[34:35], s[34:35], exec
	s_waitcnt vmcnt(0)
	v_subrev_u32_e32 v14, s12, v13
	v_cmp_lt_i32_e32 vcc, -1, v14
	v_cmp_gt_i32_e64 s[0:1], s17, v14
	s_and_b64 s[0:1], vcc, s[0:1]
	s_and_saveexec_b64 s[38:39], s[0:1]
	s_cbranch_execz .LBB27_9
; %bb.11:                               ;   in Loop: Header=BB27_10 Depth=1
	v_cmp_le_i32_e64 s[44:45], v4, v9
	v_cmp_gt_i32_e32 vcc, v4, v9
	v_mov_b32_e32 v12, 4
	s_mov_b64 s[2:3], s[44:45]
	s_and_saveexec_b64 s[40:41], vcc
	s_cbranch_execz .LBB27_13
; %bb.12:                               ;   in Loop: Header=BB27_10 Depth=1
	v_mov_b32_e32 v2, s11
	v_add_co_u32_e32 v0, vcc, s10, v0
	v_addc_co_u32_e32 v1, vcc, v2, v1, vcc
	global_load_dwordx2 v[0:1], v[0:1], off offset:-4
	v_mov_b32_e32 v12, 5
	s_waitcnt vmcnt(0)
	v_subrev_u32_e32 v2, s12, v0
	v_cmp_lt_i32_e64 s[0:1], -1, v2
	v_cmp_gt_i32_e64 s[2:3], s17, v2
	s_and_b64 s[0:1], s[0:1], s[2:3]
	v_cmp_ne_u32_e32 vcc, v1, v0
	s_xor_b64 s[0:1], s[0:1], -1
	s_or_b64 s[0:1], vcc, s[0:1]
	s_andn2_b64 s[2:3], s[44:45], exec
	s_and_b64 s[0:1], s[0:1], exec
	s_or_b64 s[2:3], s[2:3], s[0:1]
.LBB27_13:                              ;   in Loop: Header=BB27_10 Depth=1
	s_or_b64 exec, exec, s[40:41]
	s_mov_b64 s[0:1], -1
	s_mov_b64 s[42:43], -1
	s_and_saveexec_b64 s[40:41], s[2:3]
	s_cbranch_execz .LBB27_8
; %bb.14:                               ;   in Loop: Header=BB27_10 Depth=1
	v_lshlrev_b64 v[0:1], 4, v[4:5]
	v_mov_b32_e32 v2, s21
	v_add_co_u32_e32 v0, vcc, s20, v0
	v_addc_co_u32_e32 v1, vcc, v2, v1, vcc
	global_load_dwordx4 v[0:3], v[0:1], off
	v_mov_b32_e32 v12, 1
	s_mov_b64 s[2:3], -1
	s_mov_b64 s[46:47], -1
	s_waitcnt vmcnt(0)
	v_cmp_neq_f64_e32 vcc, s[28:29], v[0:1]
	v_cmp_neq_f64_e64 s[0:1], s[28:29], v[2:3]
	s_and_b64 s[0:1], vcc, s[0:1]
	s_and_saveexec_b64 s[42:43], s[0:1]
	s_cbranch_execz .LBB27_7
; %bb.15:                               ;   in Loop: Header=BB27_10 Depth=1
	v_cmp_o_f64_e32 vcc, v[0:1], v[2:3]
	v_mov_b32_e32 v12, 2
	s_mov_b64 s[0:1], -1
	s_and_saveexec_b64 s[46:47], vcc
	s_cbranch_execz .LBB27_6
; %bb.16:                               ;   in Loop: Header=BB27_10 Depth=1
	s_and_b64 vcc, exec, s[24:25]
	s_cbranch_vccz .LBB27_19
; %bb.17:                               ;   in Loop: Header=BB27_10 Depth=1
	s_and_b64 vcc, exec, s[26:27]
	s_cbranch_vccz .LBB27_20
; %bb.18:                               ;   in Loop: Header=BB27_10 Depth=1
	v_cmp_le_i32_e32 vcc, v8, v14
	s_mov_b32 s9, 7
	s_and_b64 s[2:3], vcc, exec
	s_cbranch_execz .LBB27_21
	s_branch .LBB27_22
.LBB27_19:                              ;   in Loop: Header=BB27_10 Depth=1
	s_mov_b32 s9, 2
	s_branch .LBB27_22
.LBB27_20:                              ;   in Loop: Header=BB27_10 Depth=1
	s_mov_b64 s[2:3], 0
	s_mov_b32 s9, 2
.LBB27_21:                              ;   in Loop: Header=BB27_10 Depth=1
	v_cmp_ge_i32_e32 vcc, v8, v14
	s_andn2_b64 s[2:3], s[2:3], exec
	s_and_b64 s[48:49], vcc, exec
	s_mov_b32 s9, 7
	s_or_b64 s[2:3], s[2:3], s[48:49]
.LBB27_22:                              ;   in Loop: Header=BB27_10 Depth=1
	v_mov_b32_e32 v12, s9
	s_mov_b64 s[50:51], -1
	s_and_saveexec_b64 s[48:49], s[2:3]
	s_cbranch_execz .LBB27_5
; %bb.23:                               ;   in Loop: Header=BB27_10 Depth=1
	s_nor_b64 s[2:3], s[14:15], s[44:45]
	s_mov_b64 s[44:45], -1
	v_mov_b32_e32 v12, s9
	s_and_saveexec_b64 s[50:51], s[2:3]
	s_cbranch_execz .LBB27_25
; %bb.24:                               ;   in Loop: Header=BB27_10 Depth=1
	global_load_dword v0, v[6:7], off offset:-4
	v_mov_b32_e32 v12, 6
	s_waitcnt vmcnt(0)
	v_subrev_u32_e32 v1, s12, v0
	v_cmp_lt_i32_e64 s[0:1], -1, v1
	v_cmp_gt_i32_e64 s[2:3], s17, v1
	s_and_b64 s[0:1], s[0:1], s[2:3]
	v_cmp_gt_i32_e32 vcc, v13, v0
	s_xor_b64 s[0:1], s[0:1], -1
	s_or_b64 s[0:1], vcc, s[0:1]
	s_orn2_b64 s[0:1], s[0:1], exec
.LBB27_25:                              ;   in Loop: Header=BB27_10 Depth=1
	s_or_b64 exec, exec, s[50:51]
	s_mov_b64 s[2:3], -1
	s_and_saveexec_b64 s[50:51], s[0:1]
	s_cbranch_execz .LBB27_4
; %bb.26:                               ;   in Loop: Header=BB27_10 Depth=1
	v_add_u32_e32 v4, 64, v4
	v_cmp_ge_i32_e32 vcc, v4, v10
	s_xor_b64 s[2:3], exec, -1
	s_orn2_b64 s[44:45], vcc, exec
	s_branch .LBB27_4
.LBB27_27:
	s_or_b64 exec, exec, s[22:23]
	s_and_b64 s[0:1], s[30:31], exec
.LBB27_28:
	s_or_b64 exec, exec, s[18:19]
	s_orn2_b64 s[8:9], s[0:1], exec
.LBB27_29:
	s_or_b64 exec, exec, s[6:7]
	s_and_b64 exec, exec, s[8:9]
	s_cbranch_execz .LBB27_31
; %bb.30:
	s_load_dwordx2 s[0:1], s[4:5], 0x40
	v_mov_b32_e32 v0, 0
	s_waitcnt lgkmcnt(0)
	global_store_dword v0, v12, s[0:1]
.LBB27_31:
	s_endpgm
	.section	.rodata,"a",@progbits
	.p2align	6, 0x0
	.amdhsa_kernel _ZN9rocsparseL23check_matrix_csr_deviceILj256ELj64E21rocsparse_complex_numIdEiiEEvT3_S3_T2_PKT1_PKS4_PKS3_SB_21rocsparse_index_base_22rocsparse_matrix_type_20rocsparse_fill_mode_23rocsparse_storage_mode_P22rocsparse_data_status_
		.amdhsa_group_segment_fixed_size 0
		.amdhsa_private_segment_fixed_size 0
		.amdhsa_kernarg_size 72
		.amdhsa_user_sgpr_count 6
		.amdhsa_user_sgpr_private_segment_buffer 1
		.amdhsa_user_sgpr_dispatch_ptr 0
		.amdhsa_user_sgpr_queue_ptr 0
		.amdhsa_user_sgpr_kernarg_segment_ptr 1
		.amdhsa_user_sgpr_dispatch_id 0
		.amdhsa_user_sgpr_flat_scratch_init 0
		.amdhsa_user_sgpr_private_segment_size 0
		.amdhsa_uses_dynamic_stack 0
		.amdhsa_system_sgpr_private_segment_wavefront_offset 0
		.amdhsa_system_sgpr_workgroup_id_x 1
		.amdhsa_system_sgpr_workgroup_id_y 0
		.amdhsa_system_sgpr_workgroup_id_z 0
		.amdhsa_system_sgpr_workgroup_info 0
		.amdhsa_system_vgpr_workitem_id 0
		.amdhsa_next_free_vgpr 15
		.amdhsa_next_free_sgpr 52
		.amdhsa_reserve_vcc 1
		.amdhsa_reserve_flat_scratch 0
		.amdhsa_float_round_mode_32 0
		.amdhsa_float_round_mode_16_64 0
		.amdhsa_float_denorm_mode_32 3
		.amdhsa_float_denorm_mode_16_64 3
		.amdhsa_dx10_clamp 1
		.amdhsa_ieee_mode 1
		.amdhsa_fp16_overflow 0
		.amdhsa_exception_fp_ieee_invalid_op 0
		.amdhsa_exception_fp_denorm_src 0
		.amdhsa_exception_fp_ieee_div_zero 0
		.amdhsa_exception_fp_ieee_overflow 0
		.amdhsa_exception_fp_ieee_underflow 0
		.amdhsa_exception_fp_ieee_inexact 0
		.amdhsa_exception_int_div_zero 0
	.end_amdhsa_kernel
	.section	.text._ZN9rocsparseL23check_matrix_csr_deviceILj256ELj64E21rocsparse_complex_numIdEiiEEvT3_S3_T2_PKT1_PKS4_PKS3_SB_21rocsparse_index_base_22rocsparse_matrix_type_20rocsparse_fill_mode_23rocsparse_storage_mode_P22rocsparse_data_status_,"axG",@progbits,_ZN9rocsparseL23check_matrix_csr_deviceILj256ELj64E21rocsparse_complex_numIdEiiEEvT3_S3_T2_PKT1_PKS4_PKS3_SB_21rocsparse_index_base_22rocsparse_matrix_type_20rocsparse_fill_mode_23rocsparse_storage_mode_P22rocsparse_data_status_,comdat
.Lfunc_end27:
	.size	_ZN9rocsparseL23check_matrix_csr_deviceILj256ELj64E21rocsparse_complex_numIdEiiEEvT3_S3_T2_PKT1_PKS4_PKS3_SB_21rocsparse_index_base_22rocsparse_matrix_type_20rocsparse_fill_mode_23rocsparse_storage_mode_P22rocsparse_data_status_, .Lfunc_end27-_ZN9rocsparseL23check_matrix_csr_deviceILj256ELj64E21rocsparse_complex_numIdEiiEEvT3_S3_T2_PKT1_PKS4_PKS3_SB_21rocsparse_index_base_22rocsparse_matrix_type_20rocsparse_fill_mode_23rocsparse_storage_mode_P22rocsparse_data_status_
                                        ; -- End function
	.set _ZN9rocsparseL23check_matrix_csr_deviceILj256ELj64E21rocsparse_complex_numIdEiiEEvT3_S3_T2_PKT1_PKS4_PKS3_SB_21rocsparse_index_base_22rocsparse_matrix_type_20rocsparse_fill_mode_23rocsparse_storage_mode_P22rocsparse_data_status_.num_vgpr, 15
	.set _ZN9rocsparseL23check_matrix_csr_deviceILj256ELj64E21rocsparse_complex_numIdEiiEEvT3_S3_T2_PKT1_PKS4_PKS3_SB_21rocsparse_index_base_22rocsparse_matrix_type_20rocsparse_fill_mode_23rocsparse_storage_mode_P22rocsparse_data_status_.num_agpr, 0
	.set _ZN9rocsparseL23check_matrix_csr_deviceILj256ELj64E21rocsparse_complex_numIdEiiEEvT3_S3_T2_PKT1_PKS4_PKS3_SB_21rocsparse_index_base_22rocsparse_matrix_type_20rocsparse_fill_mode_23rocsparse_storage_mode_P22rocsparse_data_status_.numbered_sgpr, 52
	.set _ZN9rocsparseL23check_matrix_csr_deviceILj256ELj64E21rocsparse_complex_numIdEiiEEvT3_S3_T2_PKT1_PKS4_PKS3_SB_21rocsparse_index_base_22rocsparse_matrix_type_20rocsparse_fill_mode_23rocsparse_storage_mode_P22rocsparse_data_status_.num_named_barrier, 0
	.set _ZN9rocsparseL23check_matrix_csr_deviceILj256ELj64E21rocsparse_complex_numIdEiiEEvT3_S3_T2_PKT1_PKS4_PKS3_SB_21rocsparse_index_base_22rocsparse_matrix_type_20rocsparse_fill_mode_23rocsparse_storage_mode_P22rocsparse_data_status_.private_seg_size, 0
	.set _ZN9rocsparseL23check_matrix_csr_deviceILj256ELj64E21rocsparse_complex_numIdEiiEEvT3_S3_T2_PKT1_PKS4_PKS3_SB_21rocsparse_index_base_22rocsparse_matrix_type_20rocsparse_fill_mode_23rocsparse_storage_mode_P22rocsparse_data_status_.uses_vcc, 1
	.set _ZN9rocsparseL23check_matrix_csr_deviceILj256ELj64E21rocsparse_complex_numIdEiiEEvT3_S3_T2_PKT1_PKS4_PKS3_SB_21rocsparse_index_base_22rocsparse_matrix_type_20rocsparse_fill_mode_23rocsparse_storage_mode_P22rocsparse_data_status_.uses_flat_scratch, 0
	.set _ZN9rocsparseL23check_matrix_csr_deviceILj256ELj64E21rocsparse_complex_numIdEiiEEvT3_S3_T2_PKT1_PKS4_PKS3_SB_21rocsparse_index_base_22rocsparse_matrix_type_20rocsparse_fill_mode_23rocsparse_storage_mode_P22rocsparse_data_status_.has_dyn_sized_stack, 0
	.set _ZN9rocsparseL23check_matrix_csr_deviceILj256ELj64E21rocsparse_complex_numIdEiiEEvT3_S3_T2_PKT1_PKS4_PKS3_SB_21rocsparse_index_base_22rocsparse_matrix_type_20rocsparse_fill_mode_23rocsparse_storage_mode_P22rocsparse_data_status_.has_recursion, 0
	.set _ZN9rocsparseL23check_matrix_csr_deviceILj256ELj64E21rocsparse_complex_numIdEiiEEvT3_S3_T2_PKT1_PKS4_PKS3_SB_21rocsparse_index_base_22rocsparse_matrix_type_20rocsparse_fill_mode_23rocsparse_storage_mode_P22rocsparse_data_status_.has_indirect_call, 0
	.section	.AMDGPU.csdata,"",@progbits
; Kernel info:
; codeLenInByte = 872
; TotalNumSgprs: 56
; NumVgprs: 15
; ScratchSize: 0
; MemoryBound: 0
; FloatMode: 240
; IeeeMode: 1
; LDSByteSize: 0 bytes/workgroup (compile time only)
; SGPRBlocks: 6
; VGPRBlocks: 3
; NumSGPRsForWavesPerEU: 56
; NumVGPRsForWavesPerEU: 15
; Occupancy: 10
; WaveLimiterHint : 0
; COMPUTE_PGM_RSRC2:SCRATCH_EN: 0
; COMPUTE_PGM_RSRC2:USER_SGPR: 6
; COMPUTE_PGM_RSRC2:TRAP_HANDLER: 0
; COMPUTE_PGM_RSRC2:TGID_X_EN: 1
; COMPUTE_PGM_RSRC2:TGID_Y_EN: 0
; COMPUTE_PGM_RSRC2:TGID_Z_EN: 0
; COMPUTE_PGM_RSRC2:TIDIG_COMP_CNT: 0
	.section	.text._ZN9rocsparseL23check_matrix_csr_deviceILj256ELj128E21rocsparse_complex_numIdEiiEEvT3_S3_T2_PKT1_PKS4_PKS3_SB_21rocsparse_index_base_22rocsparse_matrix_type_20rocsparse_fill_mode_23rocsparse_storage_mode_P22rocsparse_data_status_,"axG",@progbits,_ZN9rocsparseL23check_matrix_csr_deviceILj256ELj128E21rocsparse_complex_numIdEiiEEvT3_S3_T2_PKT1_PKS4_PKS3_SB_21rocsparse_index_base_22rocsparse_matrix_type_20rocsparse_fill_mode_23rocsparse_storage_mode_P22rocsparse_data_status_,comdat
	.globl	_ZN9rocsparseL23check_matrix_csr_deviceILj256ELj128E21rocsparse_complex_numIdEiiEEvT3_S3_T2_PKT1_PKS4_PKS3_SB_21rocsparse_index_base_22rocsparse_matrix_type_20rocsparse_fill_mode_23rocsparse_storage_mode_P22rocsparse_data_status_ ; -- Begin function _ZN9rocsparseL23check_matrix_csr_deviceILj256ELj128E21rocsparse_complex_numIdEiiEEvT3_S3_T2_PKT1_PKS4_PKS3_SB_21rocsparse_index_base_22rocsparse_matrix_type_20rocsparse_fill_mode_23rocsparse_storage_mode_P22rocsparse_data_status_
	.p2align	8
	.type	_ZN9rocsparseL23check_matrix_csr_deviceILj256ELj128E21rocsparse_complex_numIdEiiEEvT3_S3_T2_PKT1_PKS4_PKS3_SB_21rocsparse_index_base_22rocsparse_matrix_type_20rocsparse_fill_mode_23rocsparse_storage_mode_P22rocsparse_data_status_,@function
_ZN9rocsparseL23check_matrix_csr_deviceILj256ELj128E21rocsparse_complex_numIdEiiEEvT3_S3_T2_PKT1_PKS4_PKS3_SB_21rocsparse_index_base_22rocsparse_matrix_type_20rocsparse_fill_mode_23rocsparse_storage_mode_P22rocsparse_data_status_: ; @_ZN9rocsparseL23check_matrix_csr_deviceILj256ELj128E21rocsparse_complex_numIdEiiEEvT3_S3_T2_PKT1_PKS4_PKS3_SB_21rocsparse_index_base_22rocsparse_matrix_type_20rocsparse_fill_mode_23rocsparse_storage_mode_P22rocsparse_data_status_
; %bb.0:
	s_load_dwordx2 s[16:17], s[4:5], 0x0
	v_lshl_or_b32 v1, s6, 8, v0
	v_lshrrev_b32_e32 v8, 7, v1
	s_waitcnt lgkmcnt(0)
	v_cmp_gt_i32_e32 vcc, s16, v8
	s_and_saveexec_b64 s[0:1], vcc
	s_cbranch_execz .LBB28_31
; %bb.1:
	s_load_dwordx2 s[0:1], s[4:5], 0x18
	v_lshlrev_b32_e32 v1, 2, v8
	s_mov_b64 s[8:9], -1
	v_mov_b32_e32 v12, 3
	s_waitcnt lgkmcnt(0)
	global_load_dwordx2 v[1:2], v1, s[0:1]
	s_load_dword s0, s[0:1], 0x0
	s_waitcnt vmcnt(0) lgkmcnt(0)
	v_subrev_u32_e32 v10, s0, v2
	v_cmp_lt_i32_e32 vcc, v2, v1
	v_cmp_gt_i32_e64 s[2:3], 0, v10
	v_subrev_u32_e32 v9, s0, v1
	s_or_b64 s[2:3], s[2:3], vcc
	v_cmp_lt_i32_e64 s[0:1], -1, v9
	s_xor_b64 s[2:3], s[2:3], -1
	s_and_b64 s[0:1], s[0:1], s[2:3]
	s_and_saveexec_b64 s[6:7], s[0:1]
	s_cbranch_execz .LBB28_29
; %bb.2:
	v_and_b32_e32 v0, 0x7f, v0
	v_add_u32_e32 v4, v9, v0
	v_cmp_lt_u32_e32 vcc, v4, v10
	s_mov_b64 s[0:1], 0
	v_mov_b32_e32 v12, 3
	s_and_saveexec_b64 s[18:19], vcc
	s_cbranch_execz .LBB28_28
; %bb.3:
	s_load_dwordx8 s[8:15], s[4:5], 0x20
	s_load_dwordx2 s[20:21], s[4:5], 0x10
	s_mov_b32 s28, 0
	s_mov_b64 s[22:23], 0
	s_mov_b32 s29, 0x7ff00000
	s_waitcnt lgkmcnt(0)
	s_cmp_lg_u32 s13, 0
	s_cselect_b64 s[24:25], -1, 0
	s_cmp_lg_u32 s14, 0
	s_cselect_b64 s[26:27], -1, 0
	;; [unrolled: 2-line block ×3, first 2 shown]
	v_mov_b32_e32 v11, s9
                                        ; implicit-def: $sgpr30_sgpr31
                                        ; implicit-def: $sgpr34_sgpr35
                                        ; implicit-def: $sgpr36_sgpr37
	s_branch .LBB28_10
.LBB28_4:                               ;   in Loop: Header=BB28_10 Depth=1
	s_or_b64 exec, exec, s[50:51]
	s_orn2_b64 s[50:51], s[2:3], exec
	s_orn2_b64 s[0:1], s[44:45], exec
.LBB28_5:                               ;   in Loop: Header=BB28_10 Depth=1
	s_or_b64 exec, exec, s[48:49]
	s_orn2_b64 s[2:3], s[50:51], exec
	s_orn2_b64 s[0:1], s[0:1], exec
.LBB28_6:                               ;   in Loop: Header=BB28_10 Depth=1
	s_or_b64 exec, exec, s[46:47]
	s_orn2_b64 s[46:47], s[2:3], exec
	s_orn2_b64 s[2:3], s[0:1], exec
.LBB28_7:                               ;   in Loop: Header=BB28_10 Depth=1
	s_or_b64 exec, exec, s[42:43]
	s_orn2_b64 s[42:43], s[46:47], exec
	s_orn2_b64 s[0:1], s[2:3], exec
.LBB28_8:                               ;   in Loop: Header=BB28_10 Depth=1
	s_or_b64 exec, exec, s[40:41]
	s_andn2_b64 s[2:3], s[36:37], exec
	s_and_b64 s[36:37], s[42:43], exec
	s_or_b64 s[36:37], s[2:3], s[36:37]
	s_andn2_b64 s[2:3], s[34:35], exec
	s_and_b64 s[0:1], s[0:1], exec
	s_or_b64 s[34:35], s[2:3], s[0:1]
.LBB28_9:                               ;   in Loop: Header=BB28_10 Depth=1
	s_or_b64 exec, exec, s[38:39]
	s_and_b64 s[0:1], exec, s[34:35]
	s_or_b64 s[22:23], s[0:1], s[22:23]
	s_andn2_b64 s[0:1], s[30:31], exec
	s_and_b64 s[2:3], s[36:37], exec
	s_or_b64 s[30:31], s[0:1], s[2:3]
	s_andn2_b64 exec, exec, s[22:23]
	s_cbranch_execz .LBB28_27
.LBB28_10:                              ; =>This Inner Loop Header: Depth=1
	v_ashrrev_i32_e32 v5, 31, v4
	v_lshlrev_b64 v[0:1], 2, v[4:5]
	v_mov_b32_e32 v12, 4
	v_add_co_u32_e32 v6, vcc, s8, v0
	v_addc_co_u32_e32 v7, vcc, v11, v1, vcc
	global_load_dword v13, v[6:7], off
	s_or_b64 s[36:37], s[36:37], exec
	s_or_b64 s[34:35], s[34:35], exec
	s_waitcnt vmcnt(0)
	v_subrev_u32_e32 v14, s12, v13
	v_cmp_lt_i32_e32 vcc, -1, v14
	v_cmp_gt_i32_e64 s[0:1], s17, v14
	s_and_b64 s[0:1], vcc, s[0:1]
	s_and_saveexec_b64 s[38:39], s[0:1]
	s_cbranch_execz .LBB28_9
; %bb.11:                               ;   in Loop: Header=BB28_10 Depth=1
	v_cmp_le_i32_e64 s[44:45], v4, v9
	v_cmp_gt_i32_e32 vcc, v4, v9
	v_mov_b32_e32 v12, 4
	s_mov_b64 s[2:3], s[44:45]
	s_and_saveexec_b64 s[40:41], vcc
	s_cbranch_execz .LBB28_13
; %bb.12:                               ;   in Loop: Header=BB28_10 Depth=1
	v_mov_b32_e32 v2, s11
	v_add_co_u32_e32 v0, vcc, s10, v0
	v_addc_co_u32_e32 v1, vcc, v2, v1, vcc
	global_load_dwordx2 v[0:1], v[0:1], off offset:-4
	v_mov_b32_e32 v12, 5
	s_waitcnt vmcnt(0)
	v_subrev_u32_e32 v2, s12, v0
	v_cmp_lt_i32_e64 s[0:1], -1, v2
	v_cmp_gt_i32_e64 s[2:3], s17, v2
	s_and_b64 s[0:1], s[0:1], s[2:3]
	v_cmp_ne_u32_e32 vcc, v1, v0
	s_xor_b64 s[0:1], s[0:1], -1
	s_or_b64 s[0:1], vcc, s[0:1]
	s_andn2_b64 s[2:3], s[44:45], exec
	s_and_b64 s[0:1], s[0:1], exec
	s_or_b64 s[2:3], s[2:3], s[0:1]
.LBB28_13:                              ;   in Loop: Header=BB28_10 Depth=1
	s_or_b64 exec, exec, s[40:41]
	s_mov_b64 s[0:1], -1
	s_mov_b64 s[42:43], -1
	s_and_saveexec_b64 s[40:41], s[2:3]
	s_cbranch_execz .LBB28_8
; %bb.14:                               ;   in Loop: Header=BB28_10 Depth=1
	v_lshlrev_b64 v[0:1], 4, v[4:5]
	v_mov_b32_e32 v2, s21
	v_add_co_u32_e32 v0, vcc, s20, v0
	v_addc_co_u32_e32 v1, vcc, v2, v1, vcc
	global_load_dwordx4 v[0:3], v[0:1], off
	v_mov_b32_e32 v12, 1
	s_mov_b64 s[2:3], -1
	s_mov_b64 s[46:47], -1
	s_waitcnt vmcnt(0)
	v_cmp_neq_f64_e32 vcc, s[28:29], v[0:1]
	v_cmp_neq_f64_e64 s[0:1], s[28:29], v[2:3]
	s_and_b64 s[0:1], vcc, s[0:1]
	s_and_saveexec_b64 s[42:43], s[0:1]
	s_cbranch_execz .LBB28_7
; %bb.15:                               ;   in Loop: Header=BB28_10 Depth=1
	v_cmp_o_f64_e32 vcc, v[0:1], v[2:3]
	v_mov_b32_e32 v12, 2
	s_mov_b64 s[0:1], -1
	s_and_saveexec_b64 s[46:47], vcc
	s_cbranch_execz .LBB28_6
; %bb.16:                               ;   in Loop: Header=BB28_10 Depth=1
	s_and_b64 vcc, exec, s[24:25]
	s_cbranch_vccz .LBB28_19
; %bb.17:                               ;   in Loop: Header=BB28_10 Depth=1
	s_and_b64 vcc, exec, s[26:27]
	s_cbranch_vccz .LBB28_20
; %bb.18:                               ;   in Loop: Header=BB28_10 Depth=1
	v_cmp_le_i32_e32 vcc, v8, v14
	s_mov_b32 s9, 7
	s_and_b64 s[2:3], vcc, exec
	s_cbranch_execz .LBB28_21
	s_branch .LBB28_22
.LBB28_19:                              ;   in Loop: Header=BB28_10 Depth=1
	s_mov_b32 s9, 2
	s_branch .LBB28_22
.LBB28_20:                              ;   in Loop: Header=BB28_10 Depth=1
	s_mov_b64 s[2:3], 0
	s_mov_b32 s9, 2
.LBB28_21:                              ;   in Loop: Header=BB28_10 Depth=1
	v_cmp_ge_i32_e32 vcc, v8, v14
	s_andn2_b64 s[2:3], s[2:3], exec
	s_and_b64 s[48:49], vcc, exec
	s_mov_b32 s9, 7
	s_or_b64 s[2:3], s[2:3], s[48:49]
.LBB28_22:                              ;   in Loop: Header=BB28_10 Depth=1
	v_mov_b32_e32 v12, s9
	s_mov_b64 s[50:51], -1
	s_and_saveexec_b64 s[48:49], s[2:3]
	s_cbranch_execz .LBB28_5
; %bb.23:                               ;   in Loop: Header=BB28_10 Depth=1
	s_nor_b64 s[2:3], s[14:15], s[44:45]
	s_mov_b64 s[44:45], -1
	v_mov_b32_e32 v12, s9
	s_and_saveexec_b64 s[50:51], s[2:3]
	s_cbranch_execz .LBB28_25
; %bb.24:                               ;   in Loop: Header=BB28_10 Depth=1
	global_load_dword v0, v[6:7], off offset:-4
	v_mov_b32_e32 v12, 6
	s_waitcnt vmcnt(0)
	v_subrev_u32_e32 v1, s12, v0
	v_cmp_lt_i32_e64 s[0:1], -1, v1
	v_cmp_gt_i32_e64 s[2:3], s17, v1
	s_and_b64 s[0:1], s[0:1], s[2:3]
	v_cmp_gt_i32_e32 vcc, v13, v0
	s_xor_b64 s[0:1], s[0:1], -1
	s_or_b64 s[0:1], vcc, s[0:1]
	s_orn2_b64 s[0:1], s[0:1], exec
.LBB28_25:                              ;   in Loop: Header=BB28_10 Depth=1
	s_or_b64 exec, exec, s[50:51]
	s_mov_b64 s[2:3], -1
	s_and_saveexec_b64 s[50:51], s[0:1]
	s_cbranch_execz .LBB28_4
; %bb.26:                               ;   in Loop: Header=BB28_10 Depth=1
	v_add_u32_e32 v4, 0x80, v4
	v_cmp_ge_i32_e32 vcc, v4, v10
	s_xor_b64 s[2:3], exec, -1
	s_orn2_b64 s[44:45], vcc, exec
	s_branch .LBB28_4
.LBB28_27:
	s_or_b64 exec, exec, s[22:23]
	s_and_b64 s[0:1], s[30:31], exec
.LBB28_28:
	s_or_b64 exec, exec, s[18:19]
	s_orn2_b64 s[8:9], s[0:1], exec
.LBB28_29:
	s_or_b64 exec, exec, s[6:7]
	s_and_b64 exec, exec, s[8:9]
	s_cbranch_execz .LBB28_31
; %bb.30:
	s_load_dwordx2 s[0:1], s[4:5], 0x40
	v_mov_b32_e32 v0, 0
	s_waitcnt lgkmcnt(0)
	global_store_dword v0, v12, s[0:1]
.LBB28_31:
	s_endpgm
	.section	.rodata,"a",@progbits
	.p2align	6, 0x0
	.amdhsa_kernel _ZN9rocsparseL23check_matrix_csr_deviceILj256ELj128E21rocsparse_complex_numIdEiiEEvT3_S3_T2_PKT1_PKS4_PKS3_SB_21rocsparse_index_base_22rocsparse_matrix_type_20rocsparse_fill_mode_23rocsparse_storage_mode_P22rocsparse_data_status_
		.amdhsa_group_segment_fixed_size 0
		.amdhsa_private_segment_fixed_size 0
		.amdhsa_kernarg_size 72
		.amdhsa_user_sgpr_count 6
		.amdhsa_user_sgpr_private_segment_buffer 1
		.amdhsa_user_sgpr_dispatch_ptr 0
		.amdhsa_user_sgpr_queue_ptr 0
		.amdhsa_user_sgpr_kernarg_segment_ptr 1
		.amdhsa_user_sgpr_dispatch_id 0
		.amdhsa_user_sgpr_flat_scratch_init 0
		.amdhsa_user_sgpr_private_segment_size 0
		.amdhsa_uses_dynamic_stack 0
		.amdhsa_system_sgpr_private_segment_wavefront_offset 0
		.amdhsa_system_sgpr_workgroup_id_x 1
		.amdhsa_system_sgpr_workgroup_id_y 0
		.amdhsa_system_sgpr_workgroup_id_z 0
		.amdhsa_system_sgpr_workgroup_info 0
		.amdhsa_system_vgpr_workitem_id 0
		.amdhsa_next_free_vgpr 15
		.amdhsa_next_free_sgpr 52
		.amdhsa_reserve_vcc 1
		.amdhsa_reserve_flat_scratch 0
		.amdhsa_float_round_mode_32 0
		.amdhsa_float_round_mode_16_64 0
		.amdhsa_float_denorm_mode_32 3
		.amdhsa_float_denorm_mode_16_64 3
		.amdhsa_dx10_clamp 1
		.amdhsa_ieee_mode 1
		.amdhsa_fp16_overflow 0
		.amdhsa_exception_fp_ieee_invalid_op 0
		.amdhsa_exception_fp_denorm_src 0
		.amdhsa_exception_fp_ieee_div_zero 0
		.amdhsa_exception_fp_ieee_overflow 0
		.amdhsa_exception_fp_ieee_underflow 0
		.amdhsa_exception_fp_ieee_inexact 0
		.amdhsa_exception_int_div_zero 0
	.end_amdhsa_kernel
	.section	.text._ZN9rocsparseL23check_matrix_csr_deviceILj256ELj128E21rocsparse_complex_numIdEiiEEvT3_S3_T2_PKT1_PKS4_PKS3_SB_21rocsparse_index_base_22rocsparse_matrix_type_20rocsparse_fill_mode_23rocsparse_storage_mode_P22rocsparse_data_status_,"axG",@progbits,_ZN9rocsparseL23check_matrix_csr_deviceILj256ELj128E21rocsparse_complex_numIdEiiEEvT3_S3_T2_PKT1_PKS4_PKS3_SB_21rocsparse_index_base_22rocsparse_matrix_type_20rocsparse_fill_mode_23rocsparse_storage_mode_P22rocsparse_data_status_,comdat
.Lfunc_end28:
	.size	_ZN9rocsparseL23check_matrix_csr_deviceILj256ELj128E21rocsparse_complex_numIdEiiEEvT3_S3_T2_PKT1_PKS4_PKS3_SB_21rocsparse_index_base_22rocsparse_matrix_type_20rocsparse_fill_mode_23rocsparse_storage_mode_P22rocsparse_data_status_, .Lfunc_end28-_ZN9rocsparseL23check_matrix_csr_deviceILj256ELj128E21rocsparse_complex_numIdEiiEEvT3_S3_T2_PKT1_PKS4_PKS3_SB_21rocsparse_index_base_22rocsparse_matrix_type_20rocsparse_fill_mode_23rocsparse_storage_mode_P22rocsparse_data_status_
                                        ; -- End function
	.set _ZN9rocsparseL23check_matrix_csr_deviceILj256ELj128E21rocsparse_complex_numIdEiiEEvT3_S3_T2_PKT1_PKS4_PKS3_SB_21rocsparse_index_base_22rocsparse_matrix_type_20rocsparse_fill_mode_23rocsparse_storage_mode_P22rocsparse_data_status_.num_vgpr, 15
	.set _ZN9rocsparseL23check_matrix_csr_deviceILj256ELj128E21rocsparse_complex_numIdEiiEEvT3_S3_T2_PKT1_PKS4_PKS3_SB_21rocsparse_index_base_22rocsparse_matrix_type_20rocsparse_fill_mode_23rocsparse_storage_mode_P22rocsparse_data_status_.num_agpr, 0
	.set _ZN9rocsparseL23check_matrix_csr_deviceILj256ELj128E21rocsparse_complex_numIdEiiEEvT3_S3_T2_PKT1_PKS4_PKS3_SB_21rocsparse_index_base_22rocsparse_matrix_type_20rocsparse_fill_mode_23rocsparse_storage_mode_P22rocsparse_data_status_.numbered_sgpr, 52
	.set _ZN9rocsparseL23check_matrix_csr_deviceILj256ELj128E21rocsparse_complex_numIdEiiEEvT3_S3_T2_PKT1_PKS4_PKS3_SB_21rocsparse_index_base_22rocsparse_matrix_type_20rocsparse_fill_mode_23rocsparse_storage_mode_P22rocsparse_data_status_.num_named_barrier, 0
	.set _ZN9rocsparseL23check_matrix_csr_deviceILj256ELj128E21rocsparse_complex_numIdEiiEEvT3_S3_T2_PKT1_PKS4_PKS3_SB_21rocsparse_index_base_22rocsparse_matrix_type_20rocsparse_fill_mode_23rocsparse_storage_mode_P22rocsparse_data_status_.private_seg_size, 0
	.set _ZN9rocsparseL23check_matrix_csr_deviceILj256ELj128E21rocsparse_complex_numIdEiiEEvT3_S3_T2_PKT1_PKS4_PKS3_SB_21rocsparse_index_base_22rocsparse_matrix_type_20rocsparse_fill_mode_23rocsparse_storage_mode_P22rocsparse_data_status_.uses_vcc, 1
	.set _ZN9rocsparseL23check_matrix_csr_deviceILj256ELj128E21rocsparse_complex_numIdEiiEEvT3_S3_T2_PKT1_PKS4_PKS3_SB_21rocsparse_index_base_22rocsparse_matrix_type_20rocsparse_fill_mode_23rocsparse_storage_mode_P22rocsparse_data_status_.uses_flat_scratch, 0
	.set _ZN9rocsparseL23check_matrix_csr_deviceILj256ELj128E21rocsparse_complex_numIdEiiEEvT3_S3_T2_PKT1_PKS4_PKS3_SB_21rocsparse_index_base_22rocsparse_matrix_type_20rocsparse_fill_mode_23rocsparse_storage_mode_P22rocsparse_data_status_.has_dyn_sized_stack, 0
	.set _ZN9rocsparseL23check_matrix_csr_deviceILj256ELj128E21rocsparse_complex_numIdEiiEEvT3_S3_T2_PKT1_PKS4_PKS3_SB_21rocsparse_index_base_22rocsparse_matrix_type_20rocsparse_fill_mode_23rocsparse_storage_mode_P22rocsparse_data_status_.has_recursion, 0
	.set _ZN9rocsparseL23check_matrix_csr_deviceILj256ELj128E21rocsparse_complex_numIdEiiEEvT3_S3_T2_PKT1_PKS4_PKS3_SB_21rocsparse_index_base_22rocsparse_matrix_type_20rocsparse_fill_mode_23rocsparse_storage_mode_P22rocsparse_data_status_.has_indirect_call, 0
	.section	.AMDGPU.csdata,"",@progbits
; Kernel info:
; codeLenInByte = 880
; TotalNumSgprs: 56
; NumVgprs: 15
; ScratchSize: 0
; MemoryBound: 0
; FloatMode: 240
; IeeeMode: 1
; LDSByteSize: 0 bytes/workgroup (compile time only)
; SGPRBlocks: 6
; VGPRBlocks: 3
; NumSGPRsForWavesPerEU: 56
; NumVGPRsForWavesPerEU: 15
; Occupancy: 10
; WaveLimiterHint : 0
; COMPUTE_PGM_RSRC2:SCRATCH_EN: 0
; COMPUTE_PGM_RSRC2:USER_SGPR: 6
; COMPUTE_PGM_RSRC2:TRAP_HANDLER: 0
; COMPUTE_PGM_RSRC2:TGID_X_EN: 1
; COMPUTE_PGM_RSRC2:TGID_Y_EN: 0
; COMPUTE_PGM_RSRC2:TGID_Z_EN: 0
; COMPUTE_PGM_RSRC2:TIDIG_COMP_CNT: 0
	.section	.text._ZN9rocsparseL23check_matrix_csr_deviceILj256ELj256E21rocsparse_complex_numIdEiiEEvT3_S3_T2_PKT1_PKS4_PKS3_SB_21rocsparse_index_base_22rocsparse_matrix_type_20rocsparse_fill_mode_23rocsparse_storage_mode_P22rocsparse_data_status_,"axG",@progbits,_ZN9rocsparseL23check_matrix_csr_deviceILj256ELj256E21rocsparse_complex_numIdEiiEEvT3_S3_T2_PKT1_PKS4_PKS3_SB_21rocsparse_index_base_22rocsparse_matrix_type_20rocsparse_fill_mode_23rocsparse_storage_mode_P22rocsparse_data_status_,comdat
	.globl	_ZN9rocsparseL23check_matrix_csr_deviceILj256ELj256E21rocsparse_complex_numIdEiiEEvT3_S3_T2_PKT1_PKS4_PKS3_SB_21rocsparse_index_base_22rocsparse_matrix_type_20rocsparse_fill_mode_23rocsparse_storage_mode_P22rocsparse_data_status_ ; -- Begin function _ZN9rocsparseL23check_matrix_csr_deviceILj256ELj256E21rocsparse_complex_numIdEiiEEvT3_S3_T2_PKT1_PKS4_PKS3_SB_21rocsparse_index_base_22rocsparse_matrix_type_20rocsparse_fill_mode_23rocsparse_storage_mode_P22rocsparse_data_status_
	.p2align	8
	.type	_ZN9rocsparseL23check_matrix_csr_deviceILj256ELj256E21rocsparse_complex_numIdEiiEEvT3_S3_T2_PKT1_PKS4_PKS3_SB_21rocsparse_index_base_22rocsparse_matrix_type_20rocsparse_fill_mode_23rocsparse_storage_mode_P22rocsparse_data_status_,@function
_ZN9rocsparseL23check_matrix_csr_deviceILj256ELj256E21rocsparse_complex_numIdEiiEEvT3_S3_T2_PKT1_PKS4_PKS3_SB_21rocsparse_index_base_22rocsparse_matrix_type_20rocsparse_fill_mode_23rocsparse_storage_mode_P22rocsparse_data_status_: ; @_ZN9rocsparseL23check_matrix_csr_deviceILj256ELj256E21rocsparse_complex_numIdEiiEEvT3_S3_T2_PKT1_PKS4_PKS3_SB_21rocsparse_index_base_22rocsparse_matrix_type_20rocsparse_fill_mode_23rocsparse_storage_mode_P22rocsparse_data_status_
; %bb.0:
	s_load_dwordx2 s[16:17], s[4:5], 0x0
	s_and_b32 s33, s6, 0xffffff
	s_waitcnt lgkmcnt(0)
	s_cmp_lt_i32 s33, s16
	s_cselect_b64 s[0:1], -1, 0
	s_and_saveexec_b64 s[2:3], s[0:1]
	s_cbranch_execz .LBB29_31
; %bb.1:
	s_load_dwordx2 s[0:1], s[4:5], 0x18
	v_lshlrev_b32_e64 v1, 2, s33
	s_mov_b64 s[8:9], -1
	v_mov_b32_e32 v11, 3
	s_waitcnt lgkmcnt(0)
	global_load_dwordx2 v[1:2], v1, s[0:1]
	s_load_dword s0, s[0:1], 0x0
	s_waitcnt vmcnt(0) lgkmcnt(0)
	v_subrev_u32_e32 v9, s0, v2
	v_cmp_lt_i32_e32 vcc, v2, v1
	v_cmp_gt_i32_e64 s[2:3], 0, v9
	v_subrev_u32_e32 v8, s0, v1
	s_or_b64 s[2:3], s[2:3], vcc
	v_cmp_lt_i32_e64 s[0:1], -1, v8
	s_xor_b64 s[2:3], s[2:3], -1
	s_and_b64 s[0:1], s[0:1], s[2:3]
	s_and_saveexec_b64 s[6:7], s[0:1]
	s_cbranch_execz .LBB29_29
; %bb.2:
	v_add_u32_e32 v4, v8, v0
	v_cmp_lt_u32_e32 vcc, v4, v9
	s_mov_b64 s[0:1], 0
	v_mov_b32_e32 v11, 3
	s_and_saveexec_b64 s[18:19], vcc
	s_cbranch_execz .LBB29_28
; %bb.3:
	s_load_dwordx8 s[8:15], s[4:5], 0x20
	s_load_dwordx2 s[20:21], s[4:5], 0x10
	s_mov_b32 s28, 0
	s_mov_b64 s[22:23], 0
	s_mov_b32 s29, 0x7ff00000
	s_waitcnt lgkmcnt(0)
	s_cmp_lg_u32 s13, 0
	s_cselect_b64 s[24:25], -1, 0
	s_cmp_lg_u32 s14, 0
	s_cselect_b64 s[26:27], -1, 0
	;; [unrolled: 2-line block ×3, first 2 shown]
	v_mov_b32_e32 v10, s9
                                        ; implicit-def: $sgpr30_sgpr31
                                        ; implicit-def: $sgpr34_sgpr35
                                        ; implicit-def: $sgpr36_sgpr37
	s_branch .LBB29_10
.LBB29_4:                               ;   in Loop: Header=BB29_10 Depth=1
	s_or_b64 exec, exec, s[50:51]
	s_orn2_b64 s[50:51], s[2:3], exec
	s_orn2_b64 s[0:1], s[44:45], exec
.LBB29_5:                               ;   in Loop: Header=BB29_10 Depth=1
	s_or_b64 exec, exec, s[48:49]
	s_orn2_b64 s[2:3], s[50:51], exec
	s_orn2_b64 s[0:1], s[0:1], exec
.LBB29_6:                               ;   in Loop: Header=BB29_10 Depth=1
	s_or_b64 exec, exec, s[46:47]
	s_orn2_b64 s[46:47], s[2:3], exec
	s_orn2_b64 s[2:3], s[0:1], exec
.LBB29_7:                               ;   in Loop: Header=BB29_10 Depth=1
	s_or_b64 exec, exec, s[42:43]
	s_orn2_b64 s[42:43], s[46:47], exec
	s_orn2_b64 s[0:1], s[2:3], exec
.LBB29_8:                               ;   in Loop: Header=BB29_10 Depth=1
	s_or_b64 exec, exec, s[40:41]
	s_andn2_b64 s[2:3], s[36:37], exec
	s_and_b64 s[36:37], s[42:43], exec
	s_or_b64 s[36:37], s[2:3], s[36:37]
	s_andn2_b64 s[2:3], s[34:35], exec
	s_and_b64 s[0:1], s[0:1], exec
	s_or_b64 s[34:35], s[2:3], s[0:1]
.LBB29_9:                               ;   in Loop: Header=BB29_10 Depth=1
	s_or_b64 exec, exec, s[38:39]
	s_and_b64 s[0:1], exec, s[34:35]
	s_or_b64 s[22:23], s[0:1], s[22:23]
	s_andn2_b64 s[0:1], s[30:31], exec
	s_and_b64 s[2:3], s[36:37], exec
	s_or_b64 s[30:31], s[0:1], s[2:3]
	s_andn2_b64 exec, exec, s[22:23]
	s_cbranch_execz .LBB29_27
.LBB29_10:                              ; =>This Inner Loop Header: Depth=1
	v_ashrrev_i32_e32 v5, 31, v4
	v_lshlrev_b64 v[0:1], 2, v[4:5]
	v_mov_b32_e32 v11, 4
	v_add_co_u32_e32 v6, vcc, s8, v0
	v_addc_co_u32_e32 v7, vcc, v10, v1, vcc
	global_load_dword v12, v[6:7], off
	s_or_b64 s[36:37], s[36:37], exec
	s_or_b64 s[34:35], s[34:35], exec
	s_waitcnt vmcnt(0)
	v_subrev_u32_e32 v13, s12, v12
	v_cmp_lt_i32_e32 vcc, -1, v13
	v_cmp_gt_i32_e64 s[0:1], s17, v13
	s_and_b64 s[0:1], vcc, s[0:1]
	s_and_saveexec_b64 s[38:39], s[0:1]
	s_cbranch_execz .LBB29_9
; %bb.11:                               ;   in Loop: Header=BB29_10 Depth=1
	v_cmp_le_i32_e64 s[44:45], v4, v8
	v_cmp_gt_i32_e32 vcc, v4, v8
	v_mov_b32_e32 v11, 4
	s_mov_b64 s[2:3], s[44:45]
	s_and_saveexec_b64 s[40:41], vcc
	s_cbranch_execz .LBB29_13
; %bb.12:                               ;   in Loop: Header=BB29_10 Depth=1
	v_mov_b32_e32 v2, s11
	v_add_co_u32_e32 v0, vcc, s10, v0
	v_addc_co_u32_e32 v1, vcc, v2, v1, vcc
	global_load_dwordx2 v[0:1], v[0:1], off offset:-4
	v_mov_b32_e32 v11, 5
	s_waitcnt vmcnt(0)
	v_subrev_u32_e32 v2, s12, v0
	v_cmp_lt_i32_e64 s[0:1], -1, v2
	v_cmp_gt_i32_e64 s[2:3], s17, v2
	s_and_b64 s[0:1], s[0:1], s[2:3]
	v_cmp_ne_u32_e32 vcc, v1, v0
	s_xor_b64 s[0:1], s[0:1], -1
	s_or_b64 s[0:1], vcc, s[0:1]
	s_andn2_b64 s[2:3], s[44:45], exec
	s_and_b64 s[0:1], s[0:1], exec
	s_or_b64 s[2:3], s[2:3], s[0:1]
.LBB29_13:                              ;   in Loop: Header=BB29_10 Depth=1
	s_or_b64 exec, exec, s[40:41]
	s_mov_b64 s[0:1], -1
	s_mov_b64 s[42:43], -1
	s_and_saveexec_b64 s[40:41], s[2:3]
	s_cbranch_execz .LBB29_8
; %bb.14:                               ;   in Loop: Header=BB29_10 Depth=1
	v_lshlrev_b64 v[0:1], 4, v[4:5]
	v_mov_b32_e32 v2, s21
	v_add_co_u32_e32 v0, vcc, s20, v0
	v_addc_co_u32_e32 v1, vcc, v2, v1, vcc
	global_load_dwordx4 v[0:3], v[0:1], off
	v_mov_b32_e32 v11, 1
	s_mov_b64 s[2:3], -1
	s_mov_b64 s[46:47], -1
	s_waitcnt vmcnt(0)
	v_cmp_neq_f64_e32 vcc, s[28:29], v[0:1]
	v_cmp_neq_f64_e64 s[0:1], s[28:29], v[2:3]
	s_and_b64 s[0:1], vcc, s[0:1]
	s_and_saveexec_b64 s[42:43], s[0:1]
	s_cbranch_execz .LBB29_7
; %bb.15:                               ;   in Loop: Header=BB29_10 Depth=1
	v_cmp_o_f64_e32 vcc, v[0:1], v[2:3]
	v_mov_b32_e32 v11, 2
	s_mov_b64 s[0:1], -1
	s_and_saveexec_b64 s[46:47], vcc
	s_cbranch_execz .LBB29_6
; %bb.16:                               ;   in Loop: Header=BB29_10 Depth=1
	s_and_b64 vcc, exec, s[24:25]
	s_cbranch_vccz .LBB29_19
; %bb.17:                               ;   in Loop: Header=BB29_10 Depth=1
	s_and_b64 vcc, exec, s[26:27]
	s_cbranch_vccz .LBB29_20
; %bb.18:                               ;   in Loop: Header=BB29_10 Depth=1
	v_cmp_le_i32_e32 vcc, s33, v13
	s_mov_b32 s9, 7
	s_and_b64 s[2:3], vcc, exec
	s_cbranch_execz .LBB29_21
	s_branch .LBB29_22
.LBB29_19:                              ;   in Loop: Header=BB29_10 Depth=1
	s_mov_b32 s9, 2
	s_branch .LBB29_22
.LBB29_20:                              ;   in Loop: Header=BB29_10 Depth=1
	s_mov_b64 s[2:3], 0
	s_mov_b32 s9, 2
.LBB29_21:                              ;   in Loop: Header=BB29_10 Depth=1
	v_cmp_ge_i32_e32 vcc, s33, v13
	s_andn2_b64 s[2:3], s[2:3], exec
	s_and_b64 s[48:49], vcc, exec
	s_mov_b32 s9, 7
	s_or_b64 s[2:3], s[2:3], s[48:49]
.LBB29_22:                              ;   in Loop: Header=BB29_10 Depth=1
	v_mov_b32_e32 v11, s9
	s_mov_b64 s[50:51], -1
	s_and_saveexec_b64 s[48:49], s[2:3]
	s_cbranch_execz .LBB29_5
; %bb.23:                               ;   in Loop: Header=BB29_10 Depth=1
	s_nor_b64 s[2:3], s[14:15], s[44:45]
	s_mov_b64 s[44:45], -1
	v_mov_b32_e32 v11, s9
	s_and_saveexec_b64 s[50:51], s[2:3]
	s_cbranch_execz .LBB29_25
; %bb.24:                               ;   in Loop: Header=BB29_10 Depth=1
	global_load_dword v0, v[6:7], off offset:-4
	v_mov_b32_e32 v11, 6
	s_waitcnt vmcnt(0)
	v_subrev_u32_e32 v1, s12, v0
	v_cmp_lt_i32_e64 s[0:1], -1, v1
	v_cmp_gt_i32_e64 s[2:3], s17, v1
	s_and_b64 s[0:1], s[0:1], s[2:3]
	v_cmp_gt_i32_e32 vcc, v12, v0
	s_xor_b64 s[0:1], s[0:1], -1
	s_or_b64 s[0:1], vcc, s[0:1]
	s_orn2_b64 s[0:1], s[0:1], exec
.LBB29_25:                              ;   in Loop: Header=BB29_10 Depth=1
	s_or_b64 exec, exec, s[50:51]
	s_mov_b64 s[2:3], -1
	s_and_saveexec_b64 s[50:51], s[0:1]
	s_cbranch_execz .LBB29_4
; %bb.26:                               ;   in Loop: Header=BB29_10 Depth=1
	v_add_u32_e32 v4, 0x100, v4
	v_cmp_ge_i32_e32 vcc, v4, v9
	s_xor_b64 s[2:3], exec, -1
	s_orn2_b64 s[44:45], vcc, exec
	s_branch .LBB29_4
.LBB29_27:
	s_or_b64 exec, exec, s[22:23]
	s_and_b64 s[0:1], s[30:31], exec
.LBB29_28:
	s_or_b64 exec, exec, s[18:19]
	s_orn2_b64 s[8:9], s[0:1], exec
.LBB29_29:
	s_or_b64 exec, exec, s[6:7]
	s_and_b64 exec, exec, s[8:9]
	s_cbranch_execz .LBB29_31
; %bb.30:
	s_load_dwordx2 s[0:1], s[4:5], 0x40
	v_mov_b32_e32 v0, 0
	s_waitcnt lgkmcnt(0)
	global_store_dword v0, v11, s[0:1]
.LBB29_31:
	s_endpgm
	.section	.rodata,"a",@progbits
	.p2align	6, 0x0
	.amdhsa_kernel _ZN9rocsparseL23check_matrix_csr_deviceILj256ELj256E21rocsparse_complex_numIdEiiEEvT3_S3_T2_PKT1_PKS4_PKS3_SB_21rocsparse_index_base_22rocsparse_matrix_type_20rocsparse_fill_mode_23rocsparse_storage_mode_P22rocsparse_data_status_
		.amdhsa_group_segment_fixed_size 0
		.amdhsa_private_segment_fixed_size 0
		.amdhsa_kernarg_size 72
		.amdhsa_user_sgpr_count 6
		.amdhsa_user_sgpr_private_segment_buffer 1
		.amdhsa_user_sgpr_dispatch_ptr 0
		.amdhsa_user_sgpr_queue_ptr 0
		.amdhsa_user_sgpr_kernarg_segment_ptr 1
		.amdhsa_user_sgpr_dispatch_id 0
		.amdhsa_user_sgpr_flat_scratch_init 0
		.amdhsa_user_sgpr_private_segment_size 0
		.amdhsa_uses_dynamic_stack 0
		.amdhsa_system_sgpr_private_segment_wavefront_offset 0
		.amdhsa_system_sgpr_workgroup_id_x 1
		.amdhsa_system_sgpr_workgroup_id_y 0
		.amdhsa_system_sgpr_workgroup_id_z 0
		.amdhsa_system_sgpr_workgroup_info 0
		.amdhsa_system_vgpr_workitem_id 0
		.amdhsa_next_free_vgpr 14
		.amdhsa_next_free_sgpr 52
		.amdhsa_reserve_vcc 1
		.amdhsa_reserve_flat_scratch 0
		.amdhsa_float_round_mode_32 0
		.amdhsa_float_round_mode_16_64 0
		.amdhsa_float_denorm_mode_32 3
		.amdhsa_float_denorm_mode_16_64 3
		.amdhsa_dx10_clamp 1
		.amdhsa_ieee_mode 1
		.amdhsa_fp16_overflow 0
		.amdhsa_exception_fp_ieee_invalid_op 0
		.amdhsa_exception_fp_denorm_src 0
		.amdhsa_exception_fp_ieee_div_zero 0
		.amdhsa_exception_fp_ieee_overflow 0
		.amdhsa_exception_fp_ieee_underflow 0
		.amdhsa_exception_fp_ieee_inexact 0
		.amdhsa_exception_int_div_zero 0
	.end_amdhsa_kernel
	.section	.text._ZN9rocsparseL23check_matrix_csr_deviceILj256ELj256E21rocsparse_complex_numIdEiiEEvT3_S3_T2_PKT1_PKS4_PKS3_SB_21rocsparse_index_base_22rocsparse_matrix_type_20rocsparse_fill_mode_23rocsparse_storage_mode_P22rocsparse_data_status_,"axG",@progbits,_ZN9rocsparseL23check_matrix_csr_deviceILj256ELj256E21rocsparse_complex_numIdEiiEEvT3_S3_T2_PKT1_PKS4_PKS3_SB_21rocsparse_index_base_22rocsparse_matrix_type_20rocsparse_fill_mode_23rocsparse_storage_mode_P22rocsparse_data_status_,comdat
.Lfunc_end29:
	.size	_ZN9rocsparseL23check_matrix_csr_deviceILj256ELj256E21rocsparse_complex_numIdEiiEEvT3_S3_T2_PKT1_PKS4_PKS3_SB_21rocsparse_index_base_22rocsparse_matrix_type_20rocsparse_fill_mode_23rocsparse_storage_mode_P22rocsparse_data_status_, .Lfunc_end29-_ZN9rocsparseL23check_matrix_csr_deviceILj256ELj256E21rocsparse_complex_numIdEiiEEvT3_S3_T2_PKT1_PKS4_PKS3_SB_21rocsparse_index_base_22rocsparse_matrix_type_20rocsparse_fill_mode_23rocsparse_storage_mode_P22rocsparse_data_status_
                                        ; -- End function
	.set _ZN9rocsparseL23check_matrix_csr_deviceILj256ELj256E21rocsparse_complex_numIdEiiEEvT3_S3_T2_PKT1_PKS4_PKS3_SB_21rocsparse_index_base_22rocsparse_matrix_type_20rocsparse_fill_mode_23rocsparse_storage_mode_P22rocsparse_data_status_.num_vgpr, 14
	.set _ZN9rocsparseL23check_matrix_csr_deviceILj256ELj256E21rocsparse_complex_numIdEiiEEvT3_S3_T2_PKT1_PKS4_PKS3_SB_21rocsparse_index_base_22rocsparse_matrix_type_20rocsparse_fill_mode_23rocsparse_storage_mode_P22rocsparse_data_status_.num_agpr, 0
	.set _ZN9rocsparseL23check_matrix_csr_deviceILj256ELj256E21rocsparse_complex_numIdEiiEEvT3_S3_T2_PKT1_PKS4_PKS3_SB_21rocsparse_index_base_22rocsparse_matrix_type_20rocsparse_fill_mode_23rocsparse_storage_mode_P22rocsparse_data_status_.numbered_sgpr, 52
	.set _ZN9rocsparseL23check_matrix_csr_deviceILj256ELj256E21rocsparse_complex_numIdEiiEEvT3_S3_T2_PKT1_PKS4_PKS3_SB_21rocsparse_index_base_22rocsparse_matrix_type_20rocsparse_fill_mode_23rocsparse_storage_mode_P22rocsparse_data_status_.num_named_barrier, 0
	.set _ZN9rocsparseL23check_matrix_csr_deviceILj256ELj256E21rocsparse_complex_numIdEiiEEvT3_S3_T2_PKT1_PKS4_PKS3_SB_21rocsparse_index_base_22rocsparse_matrix_type_20rocsparse_fill_mode_23rocsparse_storage_mode_P22rocsparse_data_status_.private_seg_size, 0
	.set _ZN9rocsparseL23check_matrix_csr_deviceILj256ELj256E21rocsparse_complex_numIdEiiEEvT3_S3_T2_PKT1_PKS4_PKS3_SB_21rocsparse_index_base_22rocsparse_matrix_type_20rocsparse_fill_mode_23rocsparse_storage_mode_P22rocsparse_data_status_.uses_vcc, 1
	.set _ZN9rocsparseL23check_matrix_csr_deviceILj256ELj256E21rocsparse_complex_numIdEiiEEvT3_S3_T2_PKT1_PKS4_PKS3_SB_21rocsparse_index_base_22rocsparse_matrix_type_20rocsparse_fill_mode_23rocsparse_storage_mode_P22rocsparse_data_status_.uses_flat_scratch, 0
	.set _ZN9rocsparseL23check_matrix_csr_deviceILj256ELj256E21rocsparse_complex_numIdEiiEEvT3_S3_T2_PKT1_PKS4_PKS3_SB_21rocsparse_index_base_22rocsparse_matrix_type_20rocsparse_fill_mode_23rocsparse_storage_mode_P22rocsparse_data_status_.has_dyn_sized_stack, 0
	.set _ZN9rocsparseL23check_matrix_csr_deviceILj256ELj256E21rocsparse_complex_numIdEiiEEvT3_S3_T2_PKT1_PKS4_PKS3_SB_21rocsparse_index_base_22rocsparse_matrix_type_20rocsparse_fill_mode_23rocsparse_storage_mode_P22rocsparse_data_status_.has_recursion, 0
	.set _ZN9rocsparseL23check_matrix_csr_deviceILj256ELj256E21rocsparse_complex_numIdEiiEEvT3_S3_T2_PKT1_PKS4_PKS3_SB_21rocsparse_index_base_22rocsparse_matrix_type_20rocsparse_fill_mode_23rocsparse_storage_mode_P22rocsparse_data_status_.has_indirect_call, 0
	.section	.AMDGPU.csdata,"",@progbits
; Kernel info:
; codeLenInByte = 876
; TotalNumSgprs: 56
; NumVgprs: 14
; ScratchSize: 0
; MemoryBound: 0
; FloatMode: 240
; IeeeMode: 1
; LDSByteSize: 0 bytes/workgroup (compile time only)
; SGPRBlocks: 6
; VGPRBlocks: 3
; NumSGPRsForWavesPerEU: 56
; NumVGPRsForWavesPerEU: 14
; Occupancy: 10
; WaveLimiterHint : 0
; COMPUTE_PGM_RSRC2:SCRATCH_EN: 0
; COMPUTE_PGM_RSRC2:USER_SGPR: 6
; COMPUTE_PGM_RSRC2:TRAP_HANDLER: 0
; COMPUTE_PGM_RSRC2:TGID_X_EN: 1
; COMPUTE_PGM_RSRC2:TGID_Y_EN: 0
; COMPUTE_PGM_RSRC2:TGID_Z_EN: 0
; COMPUTE_PGM_RSRC2:TIDIG_COMP_CNT: 0
	.section	.text._ZN9rocsparseL19check_row_ptr_arrayILj256EliEEvT1_PKT0_P22rocsparse_data_status_,"axG",@progbits,_ZN9rocsparseL19check_row_ptr_arrayILj256EliEEvT1_PKT0_P22rocsparse_data_status_,comdat
	.globl	_ZN9rocsparseL19check_row_ptr_arrayILj256EliEEvT1_PKT0_P22rocsparse_data_status_ ; -- Begin function _ZN9rocsparseL19check_row_ptr_arrayILj256EliEEvT1_PKT0_P22rocsparse_data_status_
	.p2align	8
	.type	_ZN9rocsparseL19check_row_ptr_arrayILj256EliEEvT1_PKT0_P22rocsparse_data_status_,@function
_ZN9rocsparseL19check_row_ptr_arrayILj256EliEEvT1_PKT0_P22rocsparse_data_status_: ; @_ZN9rocsparseL19check_row_ptr_arrayILj256EliEEvT1_PKT0_P22rocsparse_data_status_
; %bb.0:
	s_load_dword s0, s[4:5], 0x0
	v_lshl_or_b32 v0, s6, 8, v0
	v_mov_b32_e32 v1, 0
	s_waitcnt lgkmcnt(0)
	s_ashr_i32 s1, s0, 31
	v_cmp_gt_i64_e32 vcc, s[0:1], v[0:1]
	s_and_saveexec_b64 s[0:1], vcc
	s_cbranch_execz .LBB30_3
; %bb.1:
	s_load_dwordx2 s[0:1], s[4:5], 0x8
	v_lshlrev_b64 v[0:1], 3, v[0:1]
	s_waitcnt lgkmcnt(0)
	v_mov_b32_e32 v2, s1
	v_add_co_u32_e32 v0, vcc, s0, v0
	v_addc_co_u32_e32 v1, vcc, v2, v1, vcc
	global_load_dwordx4 v[0:3], v[0:1], off
	s_load_dwordx2 s[2:3], s[0:1], 0x0
	s_waitcnt vmcnt(0) lgkmcnt(0)
	v_cmp_gt_i64_e32 vcc, s[2:3], v[2:3]
	v_cmp_lt_i64_e64 s[0:1], v[2:3], v[0:1]
	v_cmp_gt_i64_e64 s[2:3], s[2:3], v[0:1]
	s_or_b64 s[0:1], vcc, s[0:1]
	s_or_b64 s[0:1], s[2:3], s[0:1]
	s_and_b64 exec, exec, s[0:1]
	s_cbranch_execz .LBB30_3
; %bb.2:
	s_load_dwordx2 s[0:1], s[4:5], 0x10
	v_mov_b32_e32 v0, 0
	v_mov_b32_e32 v1, 3
	s_waitcnt lgkmcnt(0)
	global_store_dword v0, v1, s[0:1]
.LBB30_3:
	s_endpgm
	.section	.rodata,"a",@progbits
	.p2align	6, 0x0
	.amdhsa_kernel _ZN9rocsparseL19check_row_ptr_arrayILj256EliEEvT1_PKT0_P22rocsparse_data_status_
		.amdhsa_group_segment_fixed_size 0
		.amdhsa_private_segment_fixed_size 0
		.amdhsa_kernarg_size 24
		.amdhsa_user_sgpr_count 6
		.amdhsa_user_sgpr_private_segment_buffer 1
		.amdhsa_user_sgpr_dispatch_ptr 0
		.amdhsa_user_sgpr_queue_ptr 0
		.amdhsa_user_sgpr_kernarg_segment_ptr 1
		.amdhsa_user_sgpr_dispatch_id 0
		.amdhsa_user_sgpr_flat_scratch_init 0
		.amdhsa_user_sgpr_private_segment_size 0
		.amdhsa_uses_dynamic_stack 0
		.amdhsa_system_sgpr_private_segment_wavefront_offset 0
		.amdhsa_system_sgpr_workgroup_id_x 1
		.amdhsa_system_sgpr_workgroup_id_y 0
		.amdhsa_system_sgpr_workgroup_id_z 0
		.amdhsa_system_sgpr_workgroup_info 0
		.amdhsa_system_vgpr_workitem_id 0
		.amdhsa_next_free_vgpr 4
		.amdhsa_next_free_sgpr 7
		.amdhsa_reserve_vcc 1
		.amdhsa_reserve_flat_scratch 0
		.amdhsa_float_round_mode_32 0
		.amdhsa_float_round_mode_16_64 0
		.amdhsa_float_denorm_mode_32 3
		.amdhsa_float_denorm_mode_16_64 3
		.amdhsa_dx10_clamp 1
		.amdhsa_ieee_mode 1
		.amdhsa_fp16_overflow 0
		.amdhsa_exception_fp_ieee_invalid_op 0
		.amdhsa_exception_fp_denorm_src 0
		.amdhsa_exception_fp_ieee_div_zero 0
		.amdhsa_exception_fp_ieee_overflow 0
		.amdhsa_exception_fp_ieee_underflow 0
		.amdhsa_exception_fp_ieee_inexact 0
		.amdhsa_exception_int_div_zero 0
	.end_amdhsa_kernel
	.section	.text._ZN9rocsparseL19check_row_ptr_arrayILj256EliEEvT1_PKT0_P22rocsparse_data_status_,"axG",@progbits,_ZN9rocsparseL19check_row_ptr_arrayILj256EliEEvT1_PKT0_P22rocsparse_data_status_,comdat
.Lfunc_end30:
	.size	_ZN9rocsparseL19check_row_ptr_arrayILj256EliEEvT1_PKT0_P22rocsparse_data_status_, .Lfunc_end30-_ZN9rocsparseL19check_row_ptr_arrayILj256EliEEvT1_PKT0_P22rocsparse_data_status_
                                        ; -- End function
	.set _ZN9rocsparseL19check_row_ptr_arrayILj256EliEEvT1_PKT0_P22rocsparse_data_status_.num_vgpr, 4
	.set _ZN9rocsparseL19check_row_ptr_arrayILj256EliEEvT1_PKT0_P22rocsparse_data_status_.num_agpr, 0
	.set _ZN9rocsparseL19check_row_ptr_arrayILj256EliEEvT1_PKT0_P22rocsparse_data_status_.numbered_sgpr, 7
	.set _ZN9rocsparseL19check_row_ptr_arrayILj256EliEEvT1_PKT0_P22rocsparse_data_status_.num_named_barrier, 0
	.set _ZN9rocsparseL19check_row_ptr_arrayILj256EliEEvT1_PKT0_P22rocsparse_data_status_.private_seg_size, 0
	.set _ZN9rocsparseL19check_row_ptr_arrayILj256EliEEvT1_PKT0_P22rocsparse_data_status_.uses_vcc, 1
	.set _ZN9rocsparseL19check_row_ptr_arrayILj256EliEEvT1_PKT0_P22rocsparse_data_status_.uses_flat_scratch, 0
	.set _ZN9rocsparseL19check_row_ptr_arrayILj256EliEEvT1_PKT0_P22rocsparse_data_status_.has_dyn_sized_stack, 0
	.set _ZN9rocsparseL19check_row_ptr_arrayILj256EliEEvT1_PKT0_P22rocsparse_data_status_.has_recursion, 0
	.set _ZN9rocsparseL19check_row_ptr_arrayILj256EliEEvT1_PKT0_P22rocsparse_data_status_.has_indirect_call, 0
	.section	.AMDGPU.csdata,"",@progbits
; Kernel info:
; codeLenInByte = 160
; TotalNumSgprs: 11
; NumVgprs: 4
; ScratchSize: 0
; MemoryBound: 0
; FloatMode: 240
; IeeeMode: 1
; LDSByteSize: 0 bytes/workgroup (compile time only)
; SGPRBlocks: 1
; VGPRBlocks: 0
; NumSGPRsForWavesPerEU: 11
; NumVGPRsForWavesPerEU: 4
; Occupancy: 10
; WaveLimiterHint : 0
; COMPUTE_PGM_RSRC2:SCRATCH_EN: 0
; COMPUTE_PGM_RSRC2:USER_SGPR: 6
; COMPUTE_PGM_RSRC2:TRAP_HANDLER: 0
; COMPUTE_PGM_RSRC2:TGID_X_EN: 1
; COMPUTE_PGM_RSRC2:TGID_Y_EN: 0
; COMPUTE_PGM_RSRC2:TGID_Z_EN: 0
; COMPUTE_PGM_RSRC2:TIDIG_COMP_CNT: 0
	.section	.text._ZN9rocsparseL20shift_offsets_kernelILj512EliEEvT1_PKT0_PS2_,"axG",@progbits,_ZN9rocsparseL20shift_offsets_kernelILj512EliEEvT1_PKT0_PS2_,comdat
	.globl	_ZN9rocsparseL20shift_offsets_kernelILj512EliEEvT1_PKT0_PS2_ ; -- Begin function _ZN9rocsparseL20shift_offsets_kernelILj512EliEEvT1_PKT0_PS2_
	.p2align	8
	.type	_ZN9rocsparseL20shift_offsets_kernelILj512EliEEvT1_PKT0_PS2_,@function
_ZN9rocsparseL20shift_offsets_kernelILj512EliEEvT1_PKT0_PS2_: ; @_ZN9rocsparseL20shift_offsets_kernelILj512EliEEvT1_PKT0_PS2_
; %bb.0:
	s_load_dword s0, s[4:5], 0x0
	v_lshl_or_b32 v0, s6, 9, v0
	s_waitcnt lgkmcnt(0)
	v_cmp_gt_i32_e32 vcc, s0, v0
	s_and_saveexec_b64 s[0:1], vcc
	s_cbranch_execz .LBB31_2
; %bb.1:
	s_load_dwordx4 s[0:3], s[4:5], 0x8
	v_ashrrev_i32_e32 v1, 31, v0
	v_lshlrev_b64 v[0:1], 3, v[0:1]
	s_waitcnt lgkmcnt(0)
	v_mov_b32_e32 v3, s1
	v_add_co_u32_e32 v2, vcc, s0, v0
	v_addc_co_u32_e32 v3, vcc, v3, v1, vcc
	global_load_dwordx2 v[2:3], v[2:3], off
	s_load_dwordx2 s[0:1], s[0:1], 0x0
	v_mov_b32_e32 v4, s3
	v_add_co_u32_e32 v0, vcc, s2, v0
	v_addc_co_u32_e32 v1, vcc, v4, v1, vcc
	s_waitcnt lgkmcnt(0)
	v_mov_b32_e32 v4, s1
	s_waitcnt vmcnt(0)
	v_subrev_co_u32_e32 v2, vcc, s0, v2
	v_subb_co_u32_e32 v3, vcc, v3, v4, vcc
	global_store_dwordx2 v[0:1], v[2:3], off
.LBB31_2:
	s_endpgm
	.section	.rodata,"a",@progbits
	.p2align	6, 0x0
	.amdhsa_kernel _ZN9rocsparseL20shift_offsets_kernelILj512EliEEvT1_PKT0_PS2_
		.amdhsa_group_segment_fixed_size 0
		.amdhsa_private_segment_fixed_size 0
		.amdhsa_kernarg_size 24
		.amdhsa_user_sgpr_count 6
		.amdhsa_user_sgpr_private_segment_buffer 1
		.amdhsa_user_sgpr_dispatch_ptr 0
		.amdhsa_user_sgpr_queue_ptr 0
		.amdhsa_user_sgpr_kernarg_segment_ptr 1
		.amdhsa_user_sgpr_dispatch_id 0
		.amdhsa_user_sgpr_flat_scratch_init 0
		.amdhsa_user_sgpr_private_segment_size 0
		.amdhsa_uses_dynamic_stack 0
		.amdhsa_system_sgpr_private_segment_wavefront_offset 0
		.amdhsa_system_sgpr_workgroup_id_x 1
		.amdhsa_system_sgpr_workgroup_id_y 0
		.amdhsa_system_sgpr_workgroup_id_z 0
		.amdhsa_system_sgpr_workgroup_info 0
		.amdhsa_system_vgpr_workitem_id 0
		.amdhsa_next_free_vgpr 5
		.amdhsa_next_free_sgpr 7
		.amdhsa_reserve_vcc 1
		.amdhsa_reserve_flat_scratch 0
		.amdhsa_float_round_mode_32 0
		.amdhsa_float_round_mode_16_64 0
		.amdhsa_float_denorm_mode_32 3
		.amdhsa_float_denorm_mode_16_64 3
		.amdhsa_dx10_clamp 1
		.amdhsa_ieee_mode 1
		.amdhsa_fp16_overflow 0
		.amdhsa_exception_fp_ieee_invalid_op 0
		.amdhsa_exception_fp_denorm_src 0
		.amdhsa_exception_fp_ieee_div_zero 0
		.amdhsa_exception_fp_ieee_overflow 0
		.amdhsa_exception_fp_ieee_underflow 0
		.amdhsa_exception_fp_ieee_inexact 0
		.amdhsa_exception_int_div_zero 0
	.end_amdhsa_kernel
	.section	.text._ZN9rocsparseL20shift_offsets_kernelILj512EliEEvT1_PKT0_PS2_,"axG",@progbits,_ZN9rocsparseL20shift_offsets_kernelILj512EliEEvT1_PKT0_PS2_,comdat
.Lfunc_end31:
	.size	_ZN9rocsparseL20shift_offsets_kernelILj512EliEEvT1_PKT0_PS2_, .Lfunc_end31-_ZN9rocsparseL20shift_offsets_kernelILj512EliEEvT1_PKT0_PS2_
                                        ; -- End function
	.set _ZN9rocsparseL20shift_offsets_kernelILj512EliEEvT1_PKT0_PS2_.num_vgpr, 5
	.set _ZN9rocsparseL20shift_offsets_kernelILj512EliEEvT1_PKT0_PS2_.num_agpr, 0
	.set _ZN9rocsparseL20shift_offsets_kernelILj512EliEEvT1_PKT0_PS2_.numbered_sgpr, 7
	.set _ZN9rocsparseL20shift_offsets_kernelILj512EliEEvT1_PKT0_PS2_.num_named_barrier, 0
	.set _ZN9rocsparseL20shift_offsets_kernelILj512EliEEvT1_PKT0_PS2_.private_seg_size, 0
	.set _ZN9rocsparseL20shift_offsets_kernelILj512EliEEvT1_PKT0_PS2_.uses_vcc, 1
	.set _ZN9rocsparseL20shift_offsets_kernelILj512EliEEvT1_PKT0_PS2_.uses_flat_scratch, 0
	.set _ZN9rocsparseL20shift_offsets_kernelILj512EliEEvT1_PKT0_PS2_.has_dyn_sized_stack, 0
	.set _ZN9rocsparseL20shift_offsets_kernelILj512EliEEvT1_PKT0_PS2_.has_recursion, 0
	.set _ZN9rocsparseL20shift_offsets_kernelILj512EliEEvT1_PKT0_PS2_.has_indirect_call, 0
	.section	.AMDGPU.csdata,"",@progbits
; Kernel info:
; codeLenInByte = 128
; TotalNumSgprs: 11
; NumVgprs: 5
; ScratchSize: 0
; MemoryBound: 0
; FloatMode: 240
; IeeeMode: 1
; LDSByteSize: 0 bytes/workgroup (compile time only)
; SGPRBlocks: 1
; VGPRBlocks: 1
; NumSGPRsForWavesPerEU: 11
; NumVGPRsForWavesPerEU: 5
; Occupancy: 10
; WaveLimiterHint : 0
; COMPUTE_PGM_RSRC2:SCRATCH_EN: 0
; COMPUTE_PGM_RSRC2:USER_SGPR: 6
; COMPUTE_PGM_RSRC2:TRAP_HANDLER: 0
; COMPUTE_PGM_RSRC2:TGID_X_EN: 1
; COMPUTE_PGM_RSRC2:TGID_Y_EN: 0
; COMPUTE_PGM_RSRC2:TGID_Z_EN: 0
; COMPUTE_PGM_RSRC2:TIDIG_COMP_CNT: 0
	.section	.text._ZN9rocsparseL23check_matrix_csr_deviceILj256ELj4EfliEEvT3_S1_T2_PKT1_PKS2_PKS1_S9_21rocsparse_index_base_22rocsparse_matrix_type_20rocsparse_fill_mode_23rocsparse_storage_mode_P22rocsparse_data_status_,"axG",@progbits,_ZN9rocsparseL23check_matrix_csr_deviceILj256ELj4EfliEEvT3_S1_T2_PKT1_PKS2_PKS1_S9_21rocsparse_index_base_22rocsparse_matrix_type_20rocsparse_fill_mode_23rocsparse_storage_mode_P22rocsparse_data_status_,comdat
	.globl	_ZN9rocsparseL23check_matrix_csr_deviceILj256ELj4EfliEEvT3_S1_T2_PKT1_PKS2_PKS1_S9_21rocsparse_index_base_22rocsparse_matrix_type_20rocsparse_fill_mode_23rocsparse_storage_mode_P22rocsparse_data_status_ ; -- Begin function _ZN9rocsparseL23check_matrix_csr_deviceILj256ELj4EfliEEvT3_S1_T2_PKT1_PKS2_PKS1_S9_21rocsparse_index_base_22rocsparse_matrix_type_20rocsparse_fill_mode_23rocsparse_storage_mode_P22rocsparse_data_status_
	.p2align	8
	.type	_ZN9rocsparseL23check_matrix_csr_deviceILj256ELj4EfliEEvT3_S1_T2_PKT1_PKS2_PKS1_S9_21rocsparse_index_base_22rocsparse_matrix_type_20rocsparse_fill_mode_23rocsparse_storage_mode_P22rocsparse_data_status_,@function
_ZN9rocsparseL23check_matrix_csr_deviceILj256ELj4EfliEEvT3_S1_T2_PKT1_PKS2_PKS1_S9_21rocsparse_index_base_22rocsparse_matrix_type_20rocsparse_fill_mode_23rocsparse_storage_mode_P22rocsparse_data_status_: ; @_ZN9rocsparseL23check_matrix_csr_deviceILj256ELj4EfliEEvT3_S1_T2_PKT1_PKS2_PKS1_S9_21rocsparse_index_base_22rocsparse_matrix_type_20rocsparse_fill_mode_23rocsparse_storage_mode_P22rocsparse_data_status_
; %bb.0:
	s_load_dwordx2 s[16:17], s[4:5], 0x0
	v_lshl_or_b32 v1, s6, 8, v0
	v_lshrrev_b32_e32 v1, 2, v1
	s_waitcnt lgkmcnt(0)
	v_cmp_gt_i32_e32 vcc, s16, v1
	s_and_saveexec_b64 s[0:1], vcc
	s_cbranch_execz .LBB32_31
; %bb.1:
	s_load_dwordx2 s[0:1], s[4:5], 0x18
	v_mov_b32_e32 v2, 0
	v_lshlrev_b64 v[2:3], 3, v[1:2]
	v_mov_b32_e32 v14, 3
	s_mov_b64 s[10:11], -1
	s_waitcnt lgkmcnt(0)
	v_mov_b32_e32 v4, s1
	v_add_co_u32_e32 v2, vcc, s0, v2
	v_addc_co_u32_e32 v3, vcc, v4, v3, vcc
	global_load_dwordx4 v[6:9], v[2:3], off
	s_load_dwordx2 s[0:1], s[0:1], 0x0
	s_mov_b64 s[8:9], 0
	s_waitcnt lgkmcnt(0)
	v_mov_b32_e32 v5, s1
	s_waitcnt vmcnt(0)
	v_subrev_co_u32_e32 v2, vcc, s0, v6
	v_subb_co_u32_e32 v3, vcc, v7, v5, vcc
	v_subrev_co_u32_e32 v4, vcc, s0, v8
	v_subb_co_u32_e32 v5, vcc, v9, v5, vcc
	v_cmp_gt_i64_e64 s[0:1], 0, v[4:5]
	v_cmp_lt_i64_e64 s[2:3], v[8:9], v[6:7]
	v_cmp_lt_i64_e32 vcc, -1, v[2:3]
	s_or_b64 s[0:1], s[0:1], s[2:3]
	s_xor_b64 s[0:1], s[0:1], -1
	s_and_b64 s[0:1], vcc, s[0:1]
	s_and_saveexec_b64 s[6:7], s[0:1]
	s_cbranch_execz .LBB32_29
; %bb.2:
	v_and_b32_e32 v0, 3, v0
	v_add_co_u32_e32 v6, vcc, v2, v0
	v_addc_co_u32_e32 v7, vcc, 0, v3, vcc
	v_cmp_lt_u64_e32 vcc, v[6:7], v[4:5]
	v_mov_b32_e32 v14, 3
	s_and_saveexec_b64 s[18:19], vcc
	s_cbranch_execz .LBB32_28
; %bb.3:
	s_load_dwordx8 s[8:15], s[4:5], 0x20
	s_load_dwordx2 s[0:1], s[4:5], 0x10
	v_lshlrev_b64 v[12:13], 2, v[6:7]
                                        ; implicit-def: $sgpr24_sgpr25
                                        ; implicit-def: $sgpr26_sgpr27
	s_waitcnt lgkmcnt(0)
	v_mov_b32_e32 v0, s11
	v_add_co_u32_e32 v8, vcc, s10, v12
	v_addc_co_u32_e32 v0, vcc, v0, v13, vcc
	v_add_co_u32_e32 v8, vcc, -4, v8
	v_addc_co_u32_e32 v9, vcc, -1, v0, vcc
	s_cmp_lg_u32 s13, 0
	v_mov_b32_e32 v0, s1
	v_add_co_u32_e32 v10, vcc, s0, v12
	s_cselect_b64 s[20:21], -1, 0
	s_cmp_lg_u32 s14, 0
	v_addc_co_u32_e32 v11, vcc, v0, v13, vcc
	s_cselect_b64 s[22:23], -1, 0
	s_cmp_lg_u32 s15, 0
	v_mov_b32_e32 v0, s9
	v_add_co_u32_e32 v12, vcc, s8, v12
	s_cselect_b64 s[14:15], -1, 0
	v_addc_co_u32_e32 v13, vcc, v0, v13, vcc
	s_mov_b64 s[8:9], 0
	s_mov_b32 s13, 0x7f800000
                                        ; implicit-def: $sgpr10_sgpr11
	s_branch .LBB32_10
.LBB32_4:                               ;   in Loop: Header=BB32_10 Depth=1
	s_or_b64 exec, exec, s[0:1]
	s_orn2_b64 s[42:43], s[2:3], exec
	s_orn2_b64 s[0:1], s[38:39], exec
.LBB32_5:                               ;   in Loop: Header=BB32_10 Depth=1
	s_or_b64 exec, exec, s[40:41]
	s_orn2_b64 s[2:3], s[42:43], exec
	s_orn2_b64 s[0:1], s[0:1], exec
.LBB32_6:                               ;   in Loop: Header=BB32_10 Depth=1
	s_or_b64 exec, exec, s[36:37]
	s_orn2_b64 s[2:3], s[2:3], exec
	s_orn2_b64 s[0:1], s[0:1], exec
.LBB32_7:                               ;   in Loop: Header=BB32_10 Depth=1
	s_or_b64 exec, exec, s[34:35]
	s_orn2_b64 s[2:3], s[2:3], exec
	s_orn2_b64 s[0:1], s[0:1], exec
.LBB32_8:                               ;   in Loop: Header=BB32_10 Depth=1
	s_or_b64 exec, exec, s[30:31]
	s_andn2_b64 s[26:27], s[26:27], exec
	s_and_b64 s[2:3], s[2:3], exec
	s_or_b64 s[26:27], s[26:27], s[2:3]
	s_andn2_b64 s[2:3], s[24:25], exec
	s_and_b64 s[0:1], s[0:1], exec
	s_or_b64 s[24:25], s[2:3], s[0:1]
.LBB32_9:                               ;   in Loop: Header=BB32_10 Depth=1
	s_or_b64 exec, exec, s[28:29]
	s_and_b64 s[0:1], exec, s[24:25]
	s_or_b64 s[8:9], s[0:1], s[8:9]
	s_andn2_b64 s[0:1], s[10:11], exec
	s_and_b64 s[2:3], s[26:27], exec
	s_or_b64 s[10:11], s[0:1], s[2:3]
	s_andn2_b64 exec, exec, s[8:9]
	s_cbranch_execz .LBB32_27
.LBB32_10:                              ; =>This Inner Loop Header: Depth=1
	global_load_dword v0, v[12:13], off
	v_mov_b32_e32 v14, 4
	s_or_b64 s[26:27], s[26:27], exec
	s_or_b64 s[24:25], s[24:25], exec
	s_waitcnt vmcnt(0)
	v_subrev_u32_e32 v15, s12, v0
	v_cmp_lt_i32_e32 vcc, -1, v15
	v_cmp_gt_i32_e64 s[0:1], s17, v15
	s_and_b64 s[0:1], vcc, s[0:1]
	s_and_saveexec_b64 s[28:29], s[0:1]
	s_cbranch_execz .LBB32_9
; %bb.11:                               ;   in Loop: Header=BB32_10 Depth=1
	v_cmp_le_i64_e64 s[38:39], v[6:7], v[2:3]
	v_cmp_gt_i64_e32 vcc, v[6:7], v[2:3]
	v_mov_b32_e32 v14, 4
	s_mov_b64 s[34:35], s[38:39]
	s_and_saveexec_b64 s[30:31], vcc
	s_cbranch_execz .LBB32_13
; %bb.12:                               ;   in Loop: Header=BB32_10 Depth=1
	global_load_dwordx2 v[16:17], v[8:9], off
	v_mov_b32_e32 v14, 5
	s_waitcnt vmcnt(0)
	v_subrev_u32_e32 v18, s12, v16
	v_cmp_lt_i32_e64 s[0:1], -1, v18
	v_cmp_gt_i32_e64 s[2:3], s17, v18
	s_and_b64 s[0:1], s[0:1], s[2:3]
	v_cmp_ne_u32_e32 vcc, v17, v16
	s_xor_b64 s[0:1], s[0:1], -1
	s_or_b64 s[0:1], vcc, s[0:1]
	s_andn2_b64 s[2:3], s[38:39], exec
	s_and_b64 s[0:1], s[0:1], exec
	s_or_b64 s[34:35], s[2:3], s[0:1]
.LBB32_13:                              ;   in Loop: Header=BB32_10 Depth=1
	s_or_b64 exec, exec, s[30:31]
	s_mov_b64 s[0:1], -1
	s_mov_b64 s[2:3], -1
	s_and_saveexec_b64 s[30:31], s[34:35]
	s_cbranch_execz .LBB32_8
; %bb.14:                               ;   in Loop: Header=BB32_10 Depth=1
	global_load_dword v16, v[10:11], off
	v_mov_b32_e32 v14, 1
	s_waitcnt vmcnt(0)
	v_cmp_neq_f32_e32 vcc, s13, v16
	s_and_saveexec_b64 s[34:35], vcc
	s_cbranch_execz .LBB32_7
; %bb.15:                               ;   in Loop: Header=BB32_10 Depth=1
	v_cmp_o_f32_e32 vcc, v16, v16
	v_mov_b32_e32 v14, 2
	s_and_saveexec_b64 s[36:37], vcc
	s_cbranch_execz .LBB32_6
; %bb.16:                               ;   in Loop: Header=BB32_10 Depth=1
	s_and_b64 vcc, exec, s[20:21]
	s_cbranch_vccz .LBB32_19
; %bb.17:                               ;   in Loop: Header=BB32_10 Depth=1
	s_and_b64 vcc, exec, s[22:23]
	s_cbranch_vccz .LBB32_20
; %bb.18:                               ;   in Loop: Header=BB32_10 Depth=1
	v_cmp_le_i32_e32 vcc, v1, v15
	s_mov_b32 s16, 7
	s_and_b64 s[2:3], vcc, exec
	s_cbranch_execz .LBB32_21
	s_branch .LBB32_22
.LBB32_19:                              ;   in Loop: Header=BB32_10 Depth=1
	s_mov_b32 s16, 2
	s_branch .LBB32_22
.LBB32_20:                              ;   in Loop: Header=BB32_10 Depth=1
	s_mov_b64 s[2:3], 0
	s_mov_b32 s16, 2
.LBB32_21:                              ;   in Loop: Header=BB32_10 Depth=1
	v_cmp_ge_i32_e32 vcc, v1, v15
	s_andn2_b64 s[2:3], s[2:3], exec
	s_and_b64 s[40:41], vcc, exec
	s_mov_b32 s16, 7
	s_or_b64 s[2:3], s[2:3], s[40:41]
.LBB32_22:                              ;   in Loop: Header=BB32_10 Depth=1
	v_mov_b32_e32 v14, s16
	s_mov_b64 s[42:43], -1
	s_and_saveexec_b64 s[40:41], s[2:3]
	s_cbranch_execz .LBB32_5
; %bb.23:                               ;   in Loop: Header=BB32_10 Depth=1
	s_nor_b64 s[0:1], s[14:15], s[38:39]
	s_mov_b64 s[38:39], -1
	v_mov_b32_e32 v14, s16
	s_and_saveexec_b64 s[44:45], s[0:1]
	s_cbranch_execz .LBB32_25
; %bb.24:                               ;   in Loop: Header=BB32_10 Depth=1
	global_load_dword v14, v[12:13], off offset:-4
	s_waitcnt vmcnt(0)
	v_subrev_u32_e32 v15, s12, v14
	v_cmp_lt_i32_e64 s[0:1], -1, v15
	v_cmp_gt_i32_e64 s[2:3], s17, v15
	s_and_b64 s[0:1], s[0:1], s[2:3]
	v_cmp_gt_i32_e32 vcc, v0, v14
	s_xor_b64 s[0:1], s[0:1], -1
	s_or_b64 s[0:1], vcc, s[0:1]
	v_mov_b32_e32 v14, 6
	s_orn2_b64 s[42:43], s[0:1], exec
.LBB32_25:                              ;   in Loop: Header=BB32_10 Depth=1
	s_or_b64 exec, exec, s[44:45]
	s_mov_b64 s[2:3], -1
	s_and_saveexec_b64 s[0:1], s[42:43]
	s_cbranch_execz .LBB32_4
; %bb.26:                               ;   in Loop: Header=BB32_10 Depth=1
	v_add_co_u32_e32 v6, vcc, 4, v6
	v_addc_co_u32_e32 v7, vcc, 0, v7, vcc
	v_add_co_u32_e32 v8, vcc, 16, v8
	v_addc_co_u32_e32 v9, vcc, 0, v9, vcc
	;; [unrolled: 2-line block ×4, first 2 shown]
	v_cmp_ge_i64_e32 vcc, v[6:7], v[4:5]
	s_xor_b64 s[2:3], exec, -1
	s_orn2_b64 s[38:39], vcc, exec
	s_branch .LBB32_4
.LBB32_27:
	s_or_b64 exec, exec, s[8:9]
	s_and_b64 s[8:9], s[10:11], exec
.LBB32_28:
	s_or_b64 exec, exec, s[18:19]
	s_orn2_b64 s[10:11], s[8:9], exec
.LBB32_29:
	s_or_b64 exec, exec, s[6:7]
	s_and_b64 exec, exec, s[10:11]
	s_cbranch_execz .LBB32_31
; %bb.30:
	s_load_dwordx2 s[0:1], s[4:5], 0x40
	v_mov_b32_e32 v0, 0
	s_waitcnt lgkmcnt(0)
	global_store_dword v0, v14, s[0:1]
.LBB32_31:
	s_endpgm
	.section	.rodata,"a",@progbits
	.p2align	6, 0x0
	.amdhsa_kernel _ZN9rocsparseL23check_matrix_csr_deviceILj256ELj4EfliEEvT3_S1_T2_PKT1_PKS2_PKS1_S9_21rocsparse_index_base_22rocsparse_matrix_type_20rocsparse_fill_mode_23rocsparse_storage_mode_P22rocsparse_data_status_
		.amdhsa_group_segment_fixed_size 0
		.amdhsa_private_segment_fixed_size 0
		.amdhsa_kernarg_size 72
		.amdhsa_user_sgpr_count 6
		.amdhsa_user_sgpr_private_segment_buffer 1
		.amdhsa_user_sgpr_dispatch_ptr 0
		.amdhsa_user_sgpr_queue_ptr 0
		.amdhsa_user_sgpr_kernarg_segment_ptr 1
		.amdhsa_user_sgpr_dispatch_id 0
		.amdhsa_user_sgpr_flat_scratch_init 0
		.amdhsa_user_sgpr_private_segment_size 0
		.amdhsa_uses_dynamic_stack 0
		.amdhsa_system_sgpr_private_segment_wavefront_offset 0
		.amdhsa_system_sgpr_workgroup_id_x 1
		.amdhsa_system_sgpr_workgroup_id_y 0
		.amdhsa_system_sgpr_workgroup_id_z 0
		.amdhsa_system_sgpr_workgroup_info 0
		.amdhsa_system_vgpr_workitem_id 0
		.amdhsa_next_free_vgpr 19
		.amdhsa_next_free_sgpr 46
		.amdhsa_reserve_vcc 1
		.amdhsa_reserve_flat_scratch 0
		.amdhsa_float_round_mode_32 0
		.amdhsa_float_round_mode_16_64 0
		.amdhsa_float_denorm_mode_32 3
		.amdhsa_float_denorm_mode_16_64 3
		.amdhsa_dx10_clamp 1
		.amdhsa_ieee_mode 1
		.amdhsa_fp16_overflow 0
		.amdhsa_exception_fp_ieee_invalid_op 0
		.amdhsa_exception_fp_denorm_src 0
		.amdhsa_exception_fp_ieee_div_zero 0
		.amdhsa_exception_fp_ieee_overflow 0
		.amdhsa_exception_fp_ieee_underflow 0
		.amdhsa_exception_fp_ieee_inexact 0
		.amdhsa_exception_int_div_zero 0
	.end_amdhsa_kernel
	.section	.text._ZN9rocsparseL23check_matrix_csr_deviceILj256ELj4EfliEEvT3_S1_T2_PKT1_PKS2_PKS1_S9_21rocsparse_index_base_22rocsparse_matrix_type_20rocsparse_fill_mode_23rocsparse_storage_mode_P22rocsparse_data_status_,"axG",@progbits,_ZN9rocsparseL23check_matrix_csr_deviceILj256ELj4EfliEEvT3_S1_T2_PKT1_PKS2_PKS1_S9_21rocsparse_index_base_22rocsparse_matrix_type_20rocsparse_fill_mode_23rocsparse_storage_mode_P22rocsparse_data_status_,comdat
.Lfunc_end32:
	.size	_ZN9rocsparseL23check_matrix_csr_deviceILj256ELj4EfliEEvT3_S1_T2_PKT1_PKS2_PKS1_S9_21rocsparse_index_base_22rocsparse_matrix_type_20rocsparse_fill_mode_23rocsparse_storage_mode_P22rocsparse_data_status_, .Lfunc_end32-_ZN9rocsparseL23check_matrix_csr_deviceILj256ELj4EfliEEvT3_S1_T2_PKT1_PKS2_PKS1_S9_21rocsparse_index_base_22rocsparse_matrix_type_20rocsparse_fill_mode_23rocsparse_storage_mode_P22rocsparse_data_status_
                                        ; -- End function
	.set _ZN9rocsparseL23check_matrix_csr_deviceILj256ELj4EfliEEvT3_S1_T2_PKT1_PKS2_PKS1_S9_21rocsparse_index_base_22rocsparse_matrix_type_20rocsparse_fill_mode_23rocsparse_storage_mode_P22rocsparse_data_status_.num_vgpr, 19
	.set _ZN9rocsparseL23check_matrix_csr_deviceILj256ELj4EfliEEvT3_S1_T2_PKT1_PKS2_PKS1_S9_21rocsparse_index_base_22rocsparse_matrix_type_20rocsparse_fill_mode_23rocsparse_storage_mode_P22rocsparse_data_status_.num_agpr, 0
	.set _ZN9rocsparseL23check_matrix_csr_deviceILj256ELj4EfliEEvT3_S1_T2_PKT1_PKS2_PKS1_S9_21rocsparse_index_base_22rocsparse_matrix_type_20rocsparse_fill_mode_23rocsparse_storage_mode_P22rocsparse_data_status_.numbered_sgpr, 46
	.set _ZN9rocsparseL23check_matrix_csr_deviceILj256ELj4EfliEEvT3_S1_T2_PKT1_PKS2_PKS1_S9_21rocsparse_index_base_22rocsparse_matrix_type_20rocsparse_fill_mode_23rocsparse_storage_mode_P22rocsparse_data_status_.num_named_barrier, 0
	.set _ZN9rocsparseL23check_matrix_csr_deviceILj256ELj4EfliEEvT3_S1_T2_PKT1_PKS2_PKS1_S9_21rocsparse_index_base_22rocsparse_matrix_type_20rocsparse_fill_mode_23rocsparse_storage_mode_P22rocsparse_data_status_.private_seg_size, 0
	.set _ZN9rocsparseL23check_matrix_csr_deviceILj256ELj4EfliEEvT3_S1_T2_PKT1_PKS2_PKS1_S9_21rocsparse_index_base_22rocsparse_matrix_type_20rocsparse_fill_mode_23rocsparse_storage_mode_P22rocsparse_data_status_.uses_vcc, 1
	.set _ZN9rocsparseL23check_matrix_csr_deviceILj256ELj4EfliEEvT3_S1_T2_PKT1_PKS2_PKS1_S9_21rocsparse_index_base_22rocsparse_matrix_type_20rocsparse_fill_mode_23rocsparse_storage_mode_P22rocsparse_data_status_.uses_flat_scratch, 0
	.set _ZN9rocsparseL23check_matrix_csr_deviceILj256ELj4EfliEEvT3_S1_T2_PKT1_PKS2_PKS1_S9_21rocsparse_index_base_22rocsparse_matrix_type_20rocsparse_fill_mode_23rocsparse_storage_mode_P22rocsparse_data_status_.has_dyn_sized_stack, 0
	.set _ZN9rocsparseL23check_matrix_csr_deviceILj256ELj4EfliEEvT3_S1_T2_PKT1_PKS2_PKS1_S9_21rocsparse_index_base_22rocsparse_matrix_type_20rocsparse_fill_mode_23rocsparse_storage_mode_P22rocsparse_data_status_.has_recursion, 0
	.set _ZN9rocsparseL23check_matrix_csr_deviceILj256ELj4EfliEEvT3_S1_T2_PKT1_PKS2_PKS1_S9_21rocsparse_index_base_22rocsparse_matrix_type_20rocsparse_fill_mode_23rocsparse_storage_mode_P22rocsparse_data_status_.has_indirect_call, 0
	.section	.AMDGPU.csdata,"",@progbits
; Kernel info:
; codeLenInByte = 908
; TotalNumSgprs: 50
; NumVgprs: 19
; ScratchSize: 0
; MemoryBound: 0
; FloatMode: 240
; IeeeMode: 1
; LDSByteSize: 0 bytes/workgroup (compile time only)
; SGPRBlocks: 6
; VGPRBlocks: 4
; NumSGPRsForWavesPerEU: 50
; NumVGPRsForWavesPerEU: 19
; Occupancy: 10
; WaveLimiterHint : 0
; COMPUTE_PGM_RSRC2:SCRATCH_EN: 0
; COMPUTE_PGM_RSRC2:USER_SGPR: 6
; COMPUTE_PGM_RSRC2:TRAP_HANDLER: 0
; COMPUTE_PGM_RSRC2:TGID_X_EN: 1
; COMPUTE_PGM_RSRC2:TGID_Y_EN: 0
; COMPUTE_PGM_RSRC2:TGID_Z_EN: 0
; COMPUTE_PGM_RSRC2:TIDIG_COMP_CNT: 0
	.section	.text._ZN9rocsparseL23check_matrix_csr_deviceILj256ELj8EfliEEvT3_S1_T2_PKT1_PKS2_PKS1_S9_21rocsparse_index_base_22rocsparse_matrix_type_20rocsparse_fill_mode_23rocsparse_storage_mode_P22rocsparse_data_status_,"axG",@progbits,_ZN9rocsparseL23check_matrix_csr_deviceILj256ELj8EfliEEvT3_S1_T2_PKT1_PKS2_PKS1_S9_21rocsparse_index_base_22rocsparse_matrix_type_20rocsparse_fill_mode_23rocsparse_storage_mode_P22rocsparse_data_status_,comdat
	.globl	_ZN9rocsparseL23check_matrix_csr_deviceILj256ELj8EfliEEvT3_S1_T2_PKT1_PKS2_PKS1_S9_21rocsparse_index_base_22rocsparse_matrix_type_20rocsparse_fill_mode_23rocsparse_storage_mode_P22rocsparse_data_status_ ; -- Begin function _ZN9rocsparseL23check_matrix_csr_deviceILj256ELj8EfliEEvT3_S1_T2_PKT1_PKS2_PKS1_S9_21rocsparse_index_base_22rocsparse_matrix_type_20rocsparse_fill_mode_23rocsparse_storage_mode_P22rocsparse_data_status_
	.p2align	8
	.type	_ZN9rocsparseL23check_matrix_csr_deviceILj256ELj8EfliEEvT3_S1_T2_PKT1_PKS2_PKS1_S9_21rocsparse_index_base_22rocsparse_matrix_type_20rocsparse_fill_mode_23rocsparse_storage_mode_P22rocsparse_data_status_,@function
_ZN9rocsparseL23check_matrix_csr_deviceILj256ELj8EfliEEvT3_S1_T2_PKT1_PKS2_PKS1_S9_21rocsparse_index_base_22rocsparse_matrix_type_20rocsparse_fill_mode_23rocsparse_storage_mode_P22rocsparse_data_status_: ; @_ZN9rocsparseL23check_matrix_csr_deviceILj256ELj8EfliEEvT3_S1_T2_PKT1_PKS2_PKS1_S9_21rocsparse_index_base_22rocsparse_matrix_type_20rocsparse_fill_mode_23rocsparse_storage_mode_P22rocsparse_data_status_
; %bb.0:
	s_load_dwordx2 s[16:17], s[4:5], 0x0
	v_lshl_or_b32 v1, s6, 8, v0
	v_lshrrev_b32_e32 v13, 3, v1
	s_waitcnt lgkmcnt(0)
	v_cmp_gt_i32_e32 vcc, s16, v13
	s_and_saveexec_b64 s[0:1], vcc
	s_cbranch_execz .LBB33_31
; %bb.1:
	s_load_dwordx2 s[0:1], s[4:5], 0x18
	v_lshlrev_b32_e32 v1, 3, v13
	v_mov_b32_e32 v14, 3
	s_mov_b64 s[10:11], -1
	s_mov_b64 s[8:9], 0
	s_waitcnt lgkmcnt(0)
	global_load_dwordx4 v[5:8], v1, s[0:1]
	s_load_dwordx2 s[0:1], s[0:1], 0x0
	s_waitcnt lgkmcnt(0)
	v_mov_b32_e32 v4, s1
	s_waitcnt vmcnt(0)
	v_subrev_co_u32_e32 v1, vcc, s0, v5
	v_subb_co_u32_e32 v2, vcc, v6, v4, vcc
	v_subrev_co_u32_e32 v3, vcc, s0, v7
	v_subb_co_u32_e32 v4, vcc, v8, v4, vcc
	v_cmp_gt_i64_e64 s[0:1], 0, v[3:4]
	v_cmp_lt_i64_e64 s[2:3], v[7:8], v[5:6]
	v_cmp_lt_i64_e32 vcc, -1, v[1:2]
	s_or_b64 s[0:1], s[0:1], s[2:3]
	s_xor_b64 s[0:1], s[0:1], -1
	s_and_b64 s[0:1], vcc, s[0:1]
	s_and_saveexec_b64 s[6:7], s[0:1]
	s_cbranch_execz .LBB33_29
; %bb.2:
	v_and_b32_e32 v0, 7, v0
	v_add_co_u32_e32 v5, vcc, v1, v0
	v_addc_co_u32_e32 v6, vcc, 0, v2, vcc
	v_cmp_lt_u64_e32 vcc, v[5:6], v[3:4]
	v_mov_b32_e32 v14, 3
	s_and_saveexec_b64 s[18:19], vcc
	s_cbranch_execz .LBB33_28
; %bb.3:
	s_load_dwordx8 s[8:15], s[4:5], 0x20
	s_load_dwordx2 s[0:1], s[4:5], 0x10
	v_lshlrev_b64 v[11:12], 2, v[5:6]
                                        ; implicit-def: $sgpr24_sgpr25
                                        ; implicit-def: $sgpr26_sgpr27
	s_waitcnt lgkmcnt(0)
	v_mov_b32_e32 v0, s11
	v_add_co_u32_e32 v7, vcc, s10, v11
	v_addc_co_u32_e32 v0, vcc, v0, v12, vcc
	v_add_co_u32_e32 v7, vcc, -4, v7
	v_addc_co_u32_e32 v8, vcc, -1, v0, vcc
	s_cmp_lg_u32 s13, 0
	v_mov_b32_e32 v0, s1
	v_add_co_u32_e32 v9, vcc, s0, v11
	s_cselect_b64 s[20:21], -1, 0
	s_cmp_lg_u32 s14, 0
	v_addc_co_u32_e32 v10, vcc, v0, v12, vcc
	s_cselect_b64 s[22:23], -1, 0
	s_cmp_lg_u32 s15, 0
	v_mov_b32_e32 v0, s9
	v_add_co_u32_e32 v11, vcc, s8, v11
	s_cselect_b64 s[14:15], -1, 0
	v_addc_co_u32_e32 v12, vcc, v0, v12, vcc
	s_mov_b64 s[8:9], 0
	s_mov_b32 s13, 0x7f800000
                                        ; implicit-def: $sgpr10_sgpr11
	s_branch .LBB33_10
.LBB33_4:                               ;   in Loop: Header=BB33_10 Depth=1
	s_or_b64 exec, exec, s[0:1]
	s_orn2_b64 s[42:43], s[2:3], exec
	s_orn2_b64 s[0:1], s[38:39], exec
.LBB33_5:                               ;   in Loop: Header=BB33_10 Depth=1
	s_or_b64 exec, exec, s[40:41]
	s_orn2_b64 s[2:3], s[42:43], exec
	s_orn2_b64 s[0:1], s[0:1], exec
.LBB33_6:                               ;   in Loop: Header=BB33_10 Depth=1
	s_or_b64 exec, exec, s[36:37]
	s_orn2_b64 s[2:3], s[2:3], exec
	s_orn2_b64 s[0:1], s[0:1], exec
.LBB33_7:                               ;   in Loop: Header=BB33_10 Depth=1
	s_or_b64 exec, exec, s[34:35]
	s_orn2_b64 s[2:3], s[2:3], exec
	s_orn2_b64 s[0:1], s[0:1], exec
.LBB33_8:                               ;   in Loop: Header=BB33_10 Depth=1
	s_or_b64 exec, exec, s[30:31]
	s_andn2_b64 s[26:27], s[26:27], exec
	s_and_b64 s[2:3], s[2:3], exec
	s_or_b64 s[26:27], s[26:27], s[2:3]
	s_andn2_b64 s[2:3], s[24:25], exec
	s_and_b64 s[0:1], s[0:1], exec
	s_or_b64 s[24:25], s[2:3], s[0:1]
.LBB33_9:                               ;   in Loop: Header=BB33_10 Depth=1
	s_or_b64 exec, exec, s[28:29]
	s_and_b64 s[0:1], exec, s[24:25]
	s_or_b64 s[8:9], s[0:1], s[8:9]
	s_andn2_b64 s[0:1], s[10:11], exec
	s_and_b64 s[2:3], s[26:27], exec
	s_or_b64 s[10:11], s[0:1], s[2:3]
	s_andn2_b64 exec, exec, s[8:9]
	s_cbranch_execz .LBB33_27
.LBB33_10:                              ; =>This Inner Loop Header: Depth=1
	global_load_dword v0, v[11:12], off
	v_mov_b32_e32 v14, 4
	s_or_b64 s[26:27], s[26:27], exec
	s_or_b64 s[24:25], s[24:25], exec
	s_waitcnt vmcnt(0)
	v_subrev_u32_e32 v15, s12, v0
	v_cmp_lt_i32_e32 vcc, -1, v15
	v_cmp_gt_i32_e64 s[0:1], s17, v15
	s_and_b64 s[0:1], vcc, s[0:1]
	s_and_saveexec_b64 s[28:29], s[0:1]
	s_cbranch_execz .LBB33_9
; %bb.11:                               ;   in Loop: Header=BB33_10 Depth=1
	v_cmp_le_i64_e64 s[38:39], v[5:6], v[1:2]
	v_cmp_gt_i64_e32 vcc, v[5:6], v[1:2]
	v_mov_b32_e32 v14, 4
	s_mov_b64 s[34:35], s[38:39]
	s_and_saveexec_b64 s[30:31], vcc
	s_cbranch_execz .LBB33_13
; %bb.12:                               ;   in Loop: Header=BB33_10 Depth=1
	global_load_dwordx2 v[16:17], v[7:8], off
	v_mov_b32_e32 v14, 5
	s_waitcnt vmcnt(0)
	v_subrev_u32_e32 v18, s12, v16
	v_cmp_lt_i32_e64 s[0:1], -1, v18
	v_cmp_gt_i32_e64 s[2:3], s17, v18
	s_and_b64 s[0:1], s[0:1], s[2:3]
	v_cmp_ne_u32_e32 vcc, v17, v16
	s_xor_b64 s[0:1], s[0:1], -1
	s_or_b64 s[0:1], vcc, s[0:1]
	s_andn2_b64 s[2:3], s[38:39], exec
	s_and_b64 s[0:1], s[0:1], exec
	s_or_b64 s[34:35], s[2:3], s[0:1]
.LBB33_13:                              ;   in Loop: Header=BB33_10 Depth=1
	s_or_b64 exec, exec, s[30:31]
	s_mov_b64 s[0:1], -1
	s_mov_b64 s[2:3], -1
	s_and_saveexec_b64 s[30:31], s[34:35]
	s_cbranch_execz .LBB33_8
; %bb.14:                               ;   in Loop: Header=BB33_10 Depth=1
	global_load_dword v16, v[9:10], off
	v_mov_b32_e32 v14, 1
	s_waitcnt vmcnt(0)
	v_cmp_neq_f32_e32 vcc, s13, v16
	s_and_saveexec_b64 s[34:35], vcc
	s_cbranch_execz .LBB33_7
; %bb.15:                               ;   in Loop: Header=BB33_10 Depth=1
	v_cmp_o_f32_e32 vcc, v16, v16
	v_mov_b32_e32 v14, 2
	s_and_saveexec_b64 s[36:37], vcc
	s_cbranch_execz .LBB33_6
; %bb.16:                               ;   in Loop: Header=BB33_10 Depth=1
	s_and_b64 vcc, exec, s[20:21]
	s_cbranch_vccz .LBB33_19
; %bb.17:                               ;   in Loop: Header=BB33_10 Depth=1
	s_and_b64 vcc, exec, s[22:23]
	s_cbranch_vccz .LBB33_20
; %bb.18:                               ;   in Loop: Header=BB33_10 Depth=1
	v_cmp_le_i32_e32 vcc, v13, v15
	s_mov_b32 s16, 7
	s_and_b64 s[2:3], vcc, exec
	s_cbranch_execz .LBB33_21
	s_branch .LBB33_22
.LBB33_19:                              ;   in Loop: Header=BB33_10 Depth=1
	s_mov_b32 s16, 2
	s_branch .LBB33_22
.LBB33_20:                              ;   in Loop: Header=BB33_10 Depth=1
	s_mov_b64 s[2:3], 0
	s_mov_b32 s16, 2
.LBB33_21:                              ;   in Loop: Header=BB33_10 Depth=1
	v_cmp_ge_i32_e32 vcc, v13, v15
	s_andn2_b64 s[2:3], s[2:3], exec
	s_and_b64 s[40:41], vcc, exec
	s_mov_b32 s16, 7
	s_or_b64 s[2:3], s[2:3], s[40:41]
.LBB33_22:                              ;   in Loop: Header=BB33_10 Depth=1
	v_mov_b32_e32 v14, s16
	s_mov_b64 s[42:43], -1
	s_and_saveexec_b64 s[40:41], s[2:3]
	s_cbranch_execz .LBB33_5
; %bb.23:                               ;   in Loop: Header=BB33_10 Depth=1
	s_nor_b64 s[0:1], s[14:15], s[38:39]
	s_mov_b64 s[38:39], -1
	v_mov_b32_e32 v14, s16
	s_and_saveexec_b64 s[44:45], s[0:1]
	s_cbranch_execz .LBB33_25
; %bb.24:                               ;   in Loop: Header=BB33_10 Depth=1
	global_load_dword v14, v[11:12], off offset:-4
	s_waitcnt vmcnt(0)
	v_subrev_u32_e32 v15, s12, v14
	v_cmp_lt_i32_e64 s[0:1], -1, v15
	v_cmp_gt_i32_e64 s[2:3], s17, v15
	s_and_b64 s[0:1], s[0:1], s[2:3]
	v_cmp_gt_i32_e32 vcc, v0, v14
	s_xor_b64 s[0:1], s[0:1], -1
	s_or_b64 s[0:1], vcc, s[0:1]
	v_mov_b32_e32 v14, 6
	s_orn2_b64 s[42:43], s[0:1], exec
.LBB33_25:                              ;   in Loop: Header=BB33_10 Depth=1
	s_or_b64 exec, exec, s[44:45]
	s_mov_b64 s[2:3], -1
	s_and_saveexec_b64 s[0:1], s[42:43]
	s_cbranch_execz .LBB33_4
; %bb.26:                               ;   in Loop: Header=BB33_10 Depth=1
	v_add_co_u32_e32 v5, vcc, 8, v5
	v_addc_co_u32_e32 v6, vcc, 0, v6, vcc
	v_add_co_u32_e32 v7, vcc, 32, v7
	v_addc_co_u32_e32 v8, vcc, 0, v8, vcc
	;; [unrolled: 2-line block ×4, first 2 shown]
	v_cmp_ge_i64_e32 vcc, v[5:6], v[3:4]
	s_xor_b64 s[2:3], exec, -1
	s_orn2_b64 s[38:39], vcc, exec
	s_branch .LBB33_4
.LBB33_27:
	s_or_b64 exec, exec, s[8:9]
	s_and_b64 s[8:9], s[10:11], exec
.LBB33_28:
	s_or_b64 exec, exec, s[18:19]
	s_orn2_b64 s[10:11], s[8:9], exec
.LBB33_29:
	s_or_b64 exec, exec, s[6:7]
	s_and_b64 exec, exec, s[10:11]
	s_cbranch_execz .LBB33_31
; %bb.30:
	s_load_dwordx2 s[0:1], s[4:5], 0x40
	v_mov_b32_e32 v0, 0
	s_waitcnt lgkmcnt(0)
	global_store_dword v0, v14, s[0:1]
.LBB33_31:
	s_endpgm
	.section	.rodata,"a",@progbits
	.p2align	6, 0x0
	.amdhsa_kernel _ZN9rocsparseL23check_matrix_csr_deviceILj256ELj8EfliEEvT3_S1_T2_PKT1_PKS2_PKS1_S9_21rocsparse_index_base_22rocsparse_matrix_type_20rocsparse_fill_mode_23rocsparse_storage_mode_P22rocsparse_data_status_
		.amdhsa_group_segment_fixed_size 0
		.amdhsa_private_segment_fixed_size 0
		.amdhsa_kernarg_size 72
		.amdhsa_user_sgpr_count 6
		.amdhsa_user_sgpr_private_segment_buffer 1
		.amdhsa_user_sgpr_dispatch_ptr 0
		.amdhsa_user_sgpr_queue_ptr 0
		.amdhsa_user_sgpr_kernarg_segment_ptr 1
		.amdhsa_user_sgpr_dispatch_id 0
		.amdhsa_user_sgpr_flat_scratch_init 0
		.amdhsa_user_sgpr_private_segment_size 0
		.amdhsa_uses_dynamic_stack 0
		.amdhsa_system_sgpr_private_segment_wavefront_offset 0
		.amdhsa_system_sgpr_workgroup_id_x 1
		.amdhsa_system_sgpr_workgroup_id_y 0
		.amdhsa_system_sgpr_workgroup_id_z 0
		.amdhsa_system_sgpr_workgroup_info 0
		.amdhsa_system_vgpr_workitem_id 0
		.amdhsa_next_free_vgpr 19
		.amdhsa_next_free_sgpr 46
		.amdhsa_reserve_vcc 1
		.amdhsa_reserve_flat_scratch 0
		.amdhsa_float_round_mode_32 0
		.amdhsa_float_round_mode_16_64 0
		.amdhsa_float_denorm_mode_32 3
		.amdhsa_float_denorm_mode_16_64 3
		.amdhsa_dx10_clamp 1
		.amdhsa_ieee_mode 1
		.amdhsa_fp16_overflow 0
		.amdhsa_exception_fp_ieee_invalid_op 0
		.amdhsa_exception_fp_denorm_src 0
		.amdhsa_exception_fp_ieee_div_zero 0
		.amdhsa_exception_fp_ieee_overflow 0
		.amdhsa_exception_fp_ieee_underflow 0
		.amdhsa_exception_fp_ieee_inexact 0
		.amdhsa_exception_int_div_zero 0
	.end_amdhsa_kernel
	.section	.text._ZN9rocsparseL23check_matrix_csr_deviceILj256ELj8EfliEEvT3_S1_T2_PKT1_PKS2_PKS1_S9_21rocsparse_index_base_22rocsparse_matrix_type_20rocsparse_fill_mode_23rocsparse_storage_mode_P22rocsparse_data_status_,"axG",@progbits,_ZN9rocsparseL23check_matrix_csr_deviceILj256ELj8EfliEEvT3_S1_T2_PKT1_PKS2_PKS1_S9_21rocsparse_index_base_22rocsparse_matrix_type_20rocsparse_fill_mode_23rocsparse_storage_mode_P22rocsparse_data_status_,comdat
.Lfunc_end33:
	.size	_ZN9rocsparseL23check_matrix_csr_deviceILj256ELj8EfliEEvT3_S1_T2_PKT1_PKS2_PKS1_S9_21rocsparse_index_base_22rocsparse_matrix_type_20rocsparse_fill_mode_23rocsparse_storage_mode_P22rocsparse_data_status_, .Lfunc_end33-_ZN9rocsparseL23check_matrix_csr_deviceILj256ELj8EfliEEvT3_S1_T2_PKT1_PKS2_PKS1_S9_21rocsparse_index_base_22rocsparse_matrix_type_20rocsparse_fill_mode_23rocsparse_storage_mode_P22rocsparse_data_status_
                                        ; -- End function
	.set _ZN9rocsparseL23check_matrix_csr_deviceILj256ELj8EfliEEvT3_S1_T2_PKT1_PKS2_PKS1_S9_21rocsparse_index_base_22rocsparse_matrix_type_20rocsparse_fill_mode_23rocsparse_storage_mode_P22rocsparse_data_status_.num_vgpr, 19
	.set _ZN9rocsparseL23check_matrix_csr_deviceILj256ELj8EfliEEvT3_S1_T2_PKT1_PKS2_PKS1_S9_21rocsparse_index_base_22rocsparse_matrix_type_20rocsparse_fill_mode_23rocsparse_storage_mode_P22rocsparse_data_status_.num_agpr, 0
	.set _ZN9rocsparseL23check_matrix_csr_deviceILj256ELj8EfliEEvT3_S1_T2_PKT1_PKS2_PKS1_S9_21rocsparse_index_base_22rocsparse_matrix_type_20rocsparse_fill_mode_23rocsparse_storage_mode_P22rocsparse_data_status_.numbered_sgpr, 46
	.set _ZN9rocsparseL23check_matrix_csr_deviceILj256ELj8EfliEEvT3_S1_T2_PKT1_PKS2_PKS1_S9_21rocsparse_index_base_22rocsparse_matrix_type_20rocsparse_fill_mode_23rocsparse_storage_mode_P22rocsparse_data_status_.num_named_barrier, 0
	.set _ZN9rocsparseL23check_matrix_csr_deviceILj256ELj8EfliEEvT3_S1_T2_PKT1_PKS2_PKS1_S9_21rocsparse_index_base_22rocsparse_matrix_type_20rocsparse_fill_mode_23rocsparse_storage_mode_P22rocsparse_data_status_.private_seg_size, 0
	.set _ZN9rocsparseL23check_matrix_csr_deviceILj256ELj8EfliEEvT3_S1_T2_PKT1_PKS2_PKS1_S9_21rocsparse_index_base_22rocsparse_matrix_type_20rocsparse_fill_mode_23rocsparse_storage_mode_P22rocsparse_data_status_.uses_vcc, 1
	.set _ZN9rocsparseL23check_matrix_csr_deviceILj256ELj8EfliEEvT3_S1_T2_PKT1_PKS2_PKS1_S9_21rocsparse_index_base_22rocsparse_matrix_type_20rocsparse_fill_mode_23rocsparse_storage_mode_P22rocsparse_data_status_.uses_flat_scratch, 0
	.set _ZN9rocsparseL23check_matrix_csr_deviceILj256ELj8EfliEEvT3_S1_T2_PKT1_PKS2_PKS1_S9_21rocsparse_index_base_22rocsparse_matrix_type_20rocsparse_fill_mode_23rocsparse_storage_mode_P22rocsparse_data_status_.has_dyn_sized_stack, 0
	.set _ZN9rocsparseL23check_matrix_csr_deviceILj256ELj8EfliEEvT3_S1_T2_PKT1_PKS2_PKS1_S9_21rocsparse_index_base_22rocsparse_matrix_type_20rocsparse_fill_mode_23rocsparse_storage_mode_P22rocsparse_data_status_.has_recursion, 0
	.set _ZN9rocsparseL23check_matrix_csr_deviceILj256ELj8EfliEEvT3_S1_T2_PKT1_PKS2_PKS1_S9_21rocsparse_index_base_22rocsparse_matrix_type_20rocsparse_fill_mode_23rocsparse_storage_mode_P22rocsparse_data_status_.has_indirect_call, 0
	.section	.AMDGPU.csdata,"",@progbits
; Kernel info:
; codeLenInByte = 888
; TotalNumSgprs: 50
; NumVgprs: 19
; ScratchSize: 0
; MemoryBound: 0
; FloatMode: 240
; IeeeMode: 1
; LDSByteSize: 0 bytes/workgroup (compile time only)
; SGPRBlocks: 6
; VGPRBlocks: 4
; NumSGPRsForWavesPerEU: 50
; NumVGPRsForWavesPerEU: 19
; Occupancy: 10
; WaveLimiterHint : 0
; COMPUTE_PGM_RSRC2:SCRATCH_EN: 0
; COMPUTE_PGM_RSRC2:USER_SGPR: 6
; COMPUTE_PGM_RSRC2:TRAP_HANDLER: 0
; COMPUTE_PGM_RSRC2:TGID_X_EN: 1
; COMPUTE_PGM_RSRC2:TGID_Y_EN: 0
; COMPUTE_PGM_RSRC2:TGID_Z_EN: 0
; COMPUTE_PGM_RSRC2:TIDIG_COMP_CNT: 0
	.section	.text._ZN9rocsparseL23check_matrix_csr_deviceILj256ELj16EfliEEvT3_S1_T2_PKT1_PKS2_PKS1_S9_21rocsparse_index_base_22rocsparse_matrix_type_20rocsparse_fill_mode_23rocsparse_storage_mode_P22rocsparse_data_status_,"axG",@progbits,_ZN9rocsparseL23check_matrix_csr_deviceILj256ELj16EfliEEvT3_S1_T2_PKT1_PKS2_PKS1_S9_21rocsparse_index_base_22rocsparse_matrix_type_20rocsparse_fill_mode_23rocsparse_storage_mode_P22rocsparse_data_status_,comdat
	.globl	_ZN9rocsparseL23check_matrix_csr_deviceILj256ELj16EfliEEvT3_S1_T2_PKT1_PKS2_PKS1_S9_21rocsparse_index_base_22rocsparse_matrix_type_20rocsparse_fill_mode_23rocsparse_storage_mode_P22rocsparse_data_status_ ; -- Begin function _ZN9rocsparseL23check_matrix_csr_deviceILj256ELj16EfliEEvT3_S1_T2_PKT1_PKS2_PKS1_S9_21rocsparse_index_base_22rocsparse_matrix_type_20rocsparse_fill_mode_23rocsparse_storage_mode_P22rocsparse_data_status_
	.p2align	8
	.type	_ZN9rocsparseL23check_matrix_csr_deviceILj256ELj16EfliEEvT3_S1_T2_PKT1_PKS2_PKS1_S9_21rocsparse_index_base_22rocsparse_matrix_type_20rocsparse_fill_mode_23rocsparse_storage_mode_P22rocsparse_data_status_,@function
_ZN9rocsparseL23check_matrix_csr_deviceILj256ELj16EfliEEvT3_S1_T2_PKT1_PKS2_PKS1_S9_21rocsparse_index_base_22rocsparse_matrix_type_20rocsparse_fill_mode_23rocsparse_storage_mode_P22rocsparse_data_status_: ; @_ZN9rocsparseL23check_matrix_csr_deviceILj256ELj16EfliEEvT3_S1_T2_PKT1_PKS2_PKS1_S9_21rocsparse_index_base_22rocsparse_matrix_type_20rocsparse_fill_mode_23rocsparse_storage_mode_P22rocsparse_data_status_
; %bb.0:
	s_load_dwordx2 s[16:17], s[4:5], 0x0
	v_lshl_or_b32 v1, s6, 8, v0
	v_lshrrev_b32_e32 v13, 4, v1
	s_waitcnt lgkmcnt(0)
	v_cmp_gt_i32_e32 vcc, s16, v13
	s_and_saveexec_b64 s[0:1], vcc
	s_cbranch_execz .LBB34_31
; %bb.1:
	s_load_dwordx2 s[0:1], s[4:5], 0x18
	v_lshlrev_b32_e32 v1, 3, v13
	v_mov_b32_e32 v14, 3
	s_mov_b64 s[10:11], -1
	s_mov_b64 s[8:9], 0
	s_waitcnt lgkmcnt(0)
	global_load_dwordx4 v[5:8], v1, s[0:1]
	s_load_dwordx2 s[0:1], s[0:1], 0x0
	s_waitcnt lgkmcnt(0)
	v_mov_b32_e32 v4, s1
	s_waitcnt vmcnt(0)
	v_subrev_co_u32_e32 v1, vcc, s0, v5
	v_subb_co_u32_e32 v2, vcc, v6, v4, vcc
	v_subrev_co_u32_e32 v3, vcc, s0, v7
	v_subb_co_u32_e32 v4, vcc, v8, v4, vcc
	v_cmp_gt_i64_e64 s[0:1], 0, v[3:4]
	v_cmp_lt_i64_e64 s[2:3], v[7:8], v[5:6]
	v_cmp_lt_i64_e32 vcc, -1, v[1:2]
	s_or_b64 s[0:1], s[0:1], s[2:3]
	s_xor_b64 s[0:1], s[0:1], -1
	s_and_b64 s[0:1], vcc, s[0:1]
	s_and_saveexec_b64 s[6:7], s[0:1]
	s_cbranch_execz .LBB34_29
; %bb.2:
	v_and_b32_e32 v0, 15, v0
	v_add_co_u32_e32 v5, vcc, v1, v0
	v_addc_co_u32_e32 v6, vcc, 0, v2, vcc
	v_cmp_lt_u64_e32 vcc, v[5:6], v[3:4]
	v_mov_b32_e32 v14, 3
	s_and_saveexec_b64 s[18:19], vcc
	s_cbranch_execz .LBB34_28
; %bb.3:
	s_load_dwordx8 s[8:15], s[4:5], 0x20
	s_load_dwordx2 s[0:1], s[4:5], 0x10
	v_lshlrev_b64 v[11:12], 2, v[5:6]
                                        ; implicit-def: $sgpr24_sgpr25
                                        ; implicit-def: $sgpr26_sgpr27
	s_waitcnt lgkmcnt(0)
	v_mov_b32_e32 v0, s11
	v_add_co_u32_e32 v7, vcc, s10, v11
	v_addc_co_u32_e32 v0, vcc, v0, v12, vcc
	v_add_co_u32_e32 v7, vcc, -4, v7
	v_addc_co_u32_e32 v8, vcc, -1, v0, vcc
	s_cmp_lg_u32 s13, 0
	v_mov_b32_e32 v0, s1
	v_add_co_u32_e32 v9, vcc, s0, v11
	s_cselect_b64 s[20:21], -1, 0
	s_cmp_lg_u32 s14, 0
	v_addc_co_u32_e32 v10, vcc, v0, v12, vcc
	s_cselect_b64 s[22:23], -1, 0
	s_cmp_lg_u32 s15, 0
	v_mov_b32_e32 v0, s9
	v_add_co_u32_e32 v11, vcc, s8, v11
	s_cselect_b64 s[14:15], -1, 0
	v_addc_co_u32_e32 v12, vcc, v0, v12, vcc
	s_mov_b64 s[8:9], 0
	s_mov_b32 s13, 0x7f800000
                                        ; implicit-def: $sgpr10_sgpr11
	s_branch .LBB34_10
.LBB34_4:                               ;   in Loop: Header=BB34_10 Depth=1
	s_or_b64 exec, exec, s[0:1]
	s_orn2_b64 s[42:43], s[2:3], exec
	s_orn2_b64 s[0:1], s[38:39], exec
.LBB34_5:                               ;   in Loop: Header=BB34_10 Depth=1
	s_or_b64 exec, exec, s[40:41]
	s_orn2_b64 s[2:3], s[42:43], exec
	s_orn2_b64 s[0:1], s[0:1], exec
.LBB34_6:                               ;   in Loop: Header=BB34_10 Depth=1
	s_or_b64 exec, exec, s[36:37]
	s_orn2_b64 s[2:3], s[2:3], exec
	s_orn2_b64 s[0:1], s[0:1], exec
.LBB34_7:                               ;   in Loop: Header=BB34_10 Depth=1
	s_or_b64 exec, exec, s[34:35]
	s_orn2_b64 s[2:3], s[2:3], exec
	s_orn2_b64 s[0:1], s[0:1], exec
.LBB34_8:                               ;   in Loop: Header=BB34_10 Depth=1
	s_or_b64 exec, exec, s[30:31]
	s_andn2_b64 s[26:27], s[26:27], exec
	s_and_b64 s[2:3], s[2:3], exec
	s_or_b64 s[26:27], s[26:27], s[2:3]
	s_andn2_b64 s[2:3], s[24:25], exec
	s_and_b64 s[0:1], s[0:1], exec
	s_or_b64 s[24:25], s[2:3], s[0:1]
.LBB34_9:                               ;   in Loop: Header=BB34_10 Depth=1
	s_or_b64 exec, exec, s[28:29]
	s_and_b64 s[0:1], exec, s[24:25]
	s_or_b64 s[8:9], s[0:1], s[8:9]
	s_andn2_b64 s[0:1], s[10:11], exec
	s_and_b64 s[2:3], s[26:27], exec
	s_or_b64 s[10:11], s[0:1], s[2:3]
	s_andn2_b64 exec, exec, s[8:9]
	s_cbranch_execz .LBB34_27
.LBB34_10:                              ; =>This Inner Loop Header: Depth=1
	global_load_dword v0, v[11:12], off
	v_mov_b32_e32 v14, 4
	s_or_b64 s[26:27], s[26:27], exec
	s_or_b64 s[24:25], s[24:25], exec
	s_waitcnt vmcnt(0)
	v_subrev_u32_e32 v15, s12, v0
	v_cmp_lt_i32_e32 vcc, -1, v15
	v_cmp_gt_i32_e64 s[0:1], s17, v15
	s_and_b64 s[0:1], vcc, s[0:1]
	s_and_saveexec_b64 s[28:29], s[0:1]
	s_cbranch_execz .LBB34_9
; %bb.11:                               ;   in Loop: Header=BB34_10 Depth=1
	v_cmp_le_i64_e64 s[38:39], v[5:6], v[1:2]
	v_cmp_gt_i64_e32 vcc, v[5:6], v[1:2]
	v_mov_b32_e32 v14, 4
	s_mov_b64 s[34:35], s[38:39]
	s_and_saveexec_b64 s[30:31], vcc
	s_cbranch_execz .LBB34_13
; %bb.12:                               ;   in Loop: Header=BB34_10 Depth=1
	global_load_dwordx2 v[16:17], v[7:8], off
	v_mov_b32_e32 v14, 5
	s_waitcnt vmcnt(0)
	v_subrev_u32_e32 v18, s12, v16
	v_cmp_lt_i32_e64 s[0:1], -1, v18
	v_cmp_gt_i32_e64 s[2:3], s17, v18
	s_and_b64 s[0:1], s[0:1], s[2:3]
	v_cmp_ne_u32_e32 vcc, v17, v16
	s_xor_b64 s[0:1], s[0:1], -1
	s_or_b64 s[0:1], vcc, s[0:1]
	s_andn2_b64 s[2:3], s[38:39], exec
	s_and_b64 s[0:1], s[0:1], exec
	s_or_b64 s[34:35], s[2:3], s[0:1]
.LBB34_13:                              ;   in Loop: Header=BB34_10 Depth=1
	s_or_b64 exec, exec, s[30:31]
	s_mov_b64 s[0:1], -1
	s_mov_b64 s[2:3], -1
	s_and_saveexec_b64 s[30:31], s[34:35]
	s_cbranch_execz .LBB34_8
; %bb.14:                               ;   in Loop: Header=BB34_10 Depth=1
	global_load_dword v16, v[9:10], off
	v_mov_b32_e32 v14, 1
	s_waitcnt vmcnt(0)
	v_cmp_neq_f32_e32 vcc, s13, v16
	s_and_saveexec_b64 s[34:35], vcc
	s_cbranch_execz .LBB34_7
; %bb.15:                               ;   in Loop: Header=BB34_10 Depth=1
	v_cmp_o_f32_e32 vcc, v16, v16
	v_mov_b32_e32 v14, 2
	s_and_saveexec_b64 s[36:37], vcc
	s_cbranch_execz .LBB34_6
; %bb.16:                               ;   in Loop: Header=BB34_10 Depth=1
	s_and_b64 vcc, exec, s[20:21]
	s_cbranch_vccz .LBB34_19
; %bb.17:                               ;   in Loop: Header=BB34_10 Depth=1
	s_and_b64 vcc, exec, s[22:23]
	s_cbranch_vccz .LBB34_20
; %bb.18:                               ;   in Loop: Header=BB34_10 Depth=1
	v_cmp_le_i32_e32 vcc, v13, v15
	s_mov_b32 s16, 7
	s_and_b64 s[2:3], vcc, exec
	s_cbranch_execz .LBB34_21
	s_branch .LBB34_22
.LBB34_19:                              ;   in Loop: Header=BB34_10 Depth=1
	s_mov_b32 s16, 2
	s_branch .LBB34_22
.LBB34_20:                              ;   in Loop: Header=BB34_10 Depth=1
	s_mov_b64 s[2:3], 0
	s_mov_b32 s16, 2
.LBB34_21:                              ;   in Loop: Header=BB34_10 Depth=1
	v_cmp_ge_i32_e32 vcc, v13, v15
	s_andn2_b64 s[2:3], s[2:3], exec
	s_and_b64 s[40:41], vcc, exec
	s_mov_b32 s16, 7
	s_or_b64 s[2:3], s[2:3], s[40:41]
.LBB34_22:                              ;   in Loop: Header=BB34_10 Depth=1
	v_mov_b32_e32 v14, s16
	s_mov_b64 s[42:43], -1
	s_and_saveexec_b64 s[40:41], s[2:3]
	s_cbranch_execz .LBB34_5
; %bb.23:                               ;   in Loop: Header=BB34_10 Depth=1
	s_nor_b64 s[0:1], s[14:15], s[38:39]
	s_mov_b64 s[38:39], -1
	v_mov_b32_e32 v14, s16
	s_and_saveexec_b64 s[44:45], s[0:1]
	s_cbranch_execz .LBB34_25
; %bb.24:                               ;   in Loop: Header=BB34_10 Depth=1
	global_load_dword v14, v[11:12], off offset:-4
	s_waitcnt vmcnt(0)
	v_subrev_u32_e32 v15, s12, v14
	v_cmp_lt_i32_e64 s[0:1], -1, v15
	v_cmp_gt_i32_e64 s[2:3], s17, v15
	s_and_b64 s[0:1], s[0:1], s[2:3]
	v_cmp_gt_i32_e32 vcc, v0, v14
	s_xor_b64 s[0:1], s[0:1], -1
	s_or_b64 s[0:1], vcc, s[0:1]
	v_mov_b32_e32 v14, 6
	s_orn2_b64 s[42:43], s[0:1], exec
.LBB34_25:                              ;   in Loop: Header=BB34_10 Depth=1
	s_or_b64 exec, exec, s[44:45]
	s_mov_b64 s[2:3], -1
	s_and_saveexec_b64 s[0:1], s[42:43]
	s_cbranch_execz .LBB34_4
; %bb.26:                               ;   in Loop: Header=BB34_10 Depth=1
	v_add_co_u32_e32 v5, vcc, 16, v5
	v_addc_co_u32_e32 v6, vcc, 0, v6, vcc
	v_add_co_u32_e32 v7, vcc, 64, v7
	v_addc_co_u32_e32 v8, vcc, 0, v8, vcc
	v_add_co_u32_e32 v9, vcc, 64, v9
	v_addc_co_u32_e32 v10, vcc, 0, v10, vcc
	v_add_co_u32_e32 v11, vcc, 64, v11
	v_addc_co_u32_e32 v12, vcc, 0, v12, vcc
	v_cmp_ge_i64_e32 vcc, v[5:6], v[3:4]
	s_xor_b64 s[2:3], exec, -1
	s_orn2_b64 s[38:39], vcc, exec
	s_branch .LBB34_4
.LBB34_27:
	s_or_b64 exec, exec, s[8:9]
	s_and_b64 s[8:9], s[10:11], exec
.LBB34_28:
	s_or_b64 exec, exec, s[18:19]
	s_orn2_b64 s[10:11], s[8:9], exec
.LBB34_29:
	s_or_b64 exec, exec, s[6:7]
	s_and_b64 exec, exec, s[10:11]
	s_cbranch_execz .LBB34_31
; %bb.30:
	s_load_dwordx2 s[0:1], s[4:5], 0x40
	v_mov_b32_e32 v0, 0
	s_waitcnt lgkmcnt(0)
	global_store_dword v0, v14, s[0:1]
.LBB34_31:
	s_endpgm
	.section	.rodata,"a",@progbits
	.p2align	6, 0x0
	.amdhsa_kernel _ZN9rocsparseL23check_matrix_csr_deviceILj256ELj16EfliEEvT3_S1_T2_PKT1_PKS2_PKS1_S9_21rocsparse_index_base_22rocsparse_matrix_type_20rocsparse_fill_mode_23rocsparse_storage_mode_P22rocsparse_data_status_
		.amdhsa_group_segment_fixed_size 0
		.amdhsa_private_segment_fixed_size 0
		.amdhsa_kernarg_size 72
		.amdhsa_user_sgpr_count 6
		.amdhsa_user_sgpr_private_segment_buffer 1
		.amdhsa_user_sgpr_dispatch_ptr 0
		.amdhsa_user_sgpr_queue_ptr 0
		.amdhsa_user_sgpr_kernarg_segment_ptr 1
		.amdhsa_user_sgpr_dispatch_id 0
		.amdhsa_user_sgpr_flat_scratch_init 0
		.amdhsa_user_sgpr_private_segment_size 0
		.amdhsa_uses_dynamic_stack 0
		.amdhsa_system_sgpr_private_segment_wavefront_offset 0
		.amdhsa_system_sgpr_workgroup_id_x 1
		.amdhsa_system_sgpr_workgroup_id_y 0
		.amdhsa_system_sgpr_workgroup_id_z 0
		.amdhsa_system_sgpr_workgroup_info 0
		.amdhsa_system_vgpr_workitem_id 0
		.amdhsa_next_free_vgpr 19
		.amdhsa_next_free_sgpr 46
		.amdhsa_reserve_vcc 1
		.amdhsa_reserve_flat_scratch 0
		.amdhsa_float_round_mode_32 0
		.amdhsa_float_round_mode_16_64 0
		.amdhsa_float_denorm_mode_32 3
		.amdhsa_float_denorm_mode_16_64 3
		.amdhsa_dx10_clamp 1
		.amdhsa_ieee_mode 1
		.amdhsa_fp16_overflow 0
		.amdhsa_exception_fp_ieee_invalid_op 0
		.amdhsa_exception_fp_denorm_src 0
		.amdhsa_exception_fp_ieee_div_zero 0
		.amdhsa_exception_fp_ieee_overflow 0
		.amdhsa_exception_fp_ieee_underflow 0
		.amdhsa_exception_fp_ieee_inexact 0
		.amdhsa_exception_int_div_zero 0
	.end_amdhsa_kernel
	.section	.text._ZN9rocsparseL23check_matrix_csr_deviceILj256ELj16EfliEEvT3_S1_T2_PKT1_PKS2_PKS1_S9_21rocsparse_index_base_22rocsparse_matrix_type_20rocsparse_fill_mode_23rocsparse_storage_mode_P22rocsparse_data_status_,"axG",@progbits,_ZN9rocsparseL23check_matrix_csr_deviceILj256ELj16EfliEEvT3_S1_T2_PKT1_PKS2_PKS1_S9_21rocsparse_index_base_22rocsparse_matrix_type_20rocsparse_fill_mode_23rocsparse_storage_mode_P22rocsparse_data_status_,comdat
.Lfunc_end34:
	.size	_ZN9rocsparseL23check_matrix_csr_deviceILj256ELj16EfliEEvT3_S1_T2_PKT1_PKS2_PKS1_S9_21rocsparse_index_base_22rocsparse_matrix_type_20rocsparse_fill_mode_23rocsparse_storage_mode_P22rocsparse_data_status_, .Lfunc_end34-_ZN9rocsparseL23check_matrix_csr_deviceILj256ELj16EfliEEvT3_S1_T2_PKT1_PKS2_PKS1_S9_21rocsparse_index_base_22rocsparse_matrix_type_20rocsparse_fill_mode_23rocsparse_storage_mode_P22rocsparse_data_status_
                                        ; -- End function
	.set _ZN9rocsparseL23check_matrix_csr_deviceILj256ELj16EfliEEvT3_S1_T2_PKT1_PKS2_PKS1_S9_21rocsparse_index_base_22rocsparse_matrix_type_20rocsparse_fill_mode_23rocsparse_storage_mode_P22rocsparse_data_status_.num_vgpr, 19
	.set _ZN9rocsparseL23check_matrix_csr_deviceILj256ELj16EfliEEvT3_S1_T2_PKT1_PKS2_PKS1_S9_21rocsparse_index_base_22rocsparse_matrix_type_20rocsparse_fill_mode_23rocsparse_storage_mode_P22rocsparse_data_status_.num_agpr, 0
	.set _ZN9rocsparseL23check_matrix_csr_deviceILj256ELj16EfliEEvT3_S1_T2_PKT1_PKS2_PKS1_S9_21rocsparse_index_base_22rocsparse_matrix_type_20rocsparse_fill_mode_23rocsparse_storage_mode_P22rocsparse_data_status_.numbered_sgpr, 46
	.set _ZN9rocsparseL23check_matrix_csr_deviceILj256ELj16EfliEEvT3_S1_T2_PKT1_PKS2_PKS1_S9_21rocsparse_index_base_22rocsparse_matrix_type_20rocsparse_fill_mode_23rocsparse_storage_mode_P22rocsparse_data_status_.num_named_barrier, 0
	.set _ZN9rocsparseL23check_matrix_csr_deviceILj256ELj16EfliEEvT3_S1_T2_PKT1_PKS2_PKS1_S9_21rocsparse_index_base_22rocsparse_matrix_type_20rocsparse_fill_mode_23rocsparse_storage_mode_P22rocsparse_data_status_.private_seg_size, 0
	.set _ZN9rocsparseL23check_matrix_csr_deviceILj256ELj16EfliEEvT3_S1_T2_PKT1_PKS2_PKS1_S9_21rocsparse_index_base_22rocsparse_matrix_type_20rocsparse_fill_mode_23rocsparse_storage_mode_P22rocsparse_data_status_.uses_vcc, 1
	.set _ZN9rocsparseL23check_matrix_csr_deviceILj256ELj16EfliEEvT3_S1_T2_PKT1_PKS2_PKS1_S9_21rocsparse_index_base_22rocsparse_matrix_type_20rocsparse_fill_mode_23rocsparse_storage_mode_P22rocsparse_data_status_.uses_flat_scratch, 0
	.set _ZN9rocsparseL23check_matrix_csr_deviceILj256ELj16EfliEEvT3_S1_T2_PKT1_PKS2_PKS1_S9_21rocsparse_index_base_22rocsparse_matrix_type_20rocsparse_fill_mode_23rocsparse_storage_mode_P22rocsparse_data_status_.has_dyn_sized_stack, 0
	.set _ZN9rocsparseL23check_matrix_csr_deviceILj256ELj16EfliEEvT3_S1_T2_PKT1_PKS2_PKS1_S9_21rocsparse_index_base_22rocsparse_matrix_type_20rocsparse_fill_mode_23rocsparse_storage_mode_P22rocsparse_data_status_.has_recursion, 0
	.set _ZN9rocsparseL23check_matrix_csr_deviceILj256ELj16EfliEEvT3_S1_T2_PKT1_PKS2_PKS1_S9_21rocsparse_index_base_22rocsparse_matrix_type_20rocsparse_fill_mode_23rocsparse_storage_mode_P22rocsparse_data_status_.has_indirect_call, 0
	.section	.AMDGPU.csdata,"",@progbits
; Kernel info:
; codeLenInByte = 888
; TotalNumSgprs: 50
; NumVgprs: 19
; ScratchSize: 0
; MemoryBound: 0
; FloatMode: 240
; IeeeMode: 1
; LDSByteSize: 0 bytes/workgroup (compile time only)
; SGPRBlocks: 6
; VGPRBlocks: 4
; NumSGPRsForWavesPerEU: 50
; NumVGPRsForWavesPerEU: 19
; Occupancy: 10
; WaveLimiterHint : 0
; COMPUTE_PGM_RSRC2:SCRATCH_EN: 0
; COMPUTE_PGM_RSRC2:USER_SGPR: 6
; COMPUTE_PGM_RSRC2:TRAP_HANDLER: 0
; COMPUTE_PGM_RSRC2:TGID_X_EN: 1
; COMPUTE_PGM_RSRC2:TGID_Y_EN: 0
; COMPUTE_PGM_RSRC2:TGID_Z_EN: 0
; COMPUTE_PGM_RSRC2:TIDIG_COMP_CNT: 0
	.section	.text._ZN9rocsparseL23check_matrix_csr_deviceILj256ELj32EfliEEvT3_S1_T2_PKT1_PKS2_PKS1_S9_21rocsparse_index_base_22rocsparse_matrix_type_20rocsparse_fill_mode_23rocsparse_storage_mode_P22rocsparse_data_status_,"axG",@progbits,_ZN9rocsparseL23check_matrix_csr_deviceILj256ELj32EfliEEvT3_S1_T2_PKT1_PKS2_PKS1_S9_21rocsparse_index_base_22rocsparse_matrix_type_20rocsparse_fill_mode_23rocsparse_storage_mode_P22rocsparse_data_status_,comdat
	.globl	_ZN9rocsparseL23check_matrix_csr_deviceILj256ELj32EfliEEvT3_S1_T2_PKT1_PKS2_PKS1_S9_21rocsparse_index_base_22rocsparse_matrix_type_20rocsparse_fill_mode_23rocsparse_storage_mode_P22rocsparse_data_status_ ; -- Begin function _ZN9rocsparseL23check_matrix_csr_deviceILj256ELj32EfliEEvT3_S1_T2_PKT1_PKS2_PKS1_S9_21rocsparse_index_base_22rocsparse_matrix_type_20rocsparse_fill_mode_23rocsparse_storage_mode_P22rocsparse_data_status_
	.p2align	8
	.type	_ZN9rocsparseL23check_matrix_csr_deviceILj256ELj32EfliEEvT3_S1_T2_PKT1_PKS2_PKS1_S9_21rocsparse_index_base_22rocsparse_matrix_type_20rocsparse_fill_mode_23rocsparse_storage_mode_P22rocsparse_data_status_,@function
_ZN9rocsparseL23check_matrix_csr_deviceILj256ELj32EfliEEvT3_S1_T2_PKT1_PKS2_PKS1_S9_21rocsparse_index_base_22rocsparse_matrix_type_20rocsparse_fill_mode_23rocsparse_storage_mode_P22rocsparse_data_status_: ; @_ZN9rocsparseL23check_matrix_csr_deviceILj256ELj32EfliEEvT3_S1_T2_PKT1_PKS2_PKS1_S9_21rocsparse_index_base_22rocsparse_matrix_type_20rocsparse_fill_mode_23rocsparse_storage_mode_P22rocsparse_data_status_
; %bb.0:
	s_load_dwordx2 s[16:17], s[4:5], 0x0
	v_lshl_or_b32 v1, s6, 8, v0
	v_lshrrev_b32_e32 v13, 5, v1
	s_waitcnt lgkmcnt(0)
	v_cmp_gt_i32_e32 vcc, s16, v13
	s_and_saveexec_b64 s[0:1], vcc
	s_cbranch_execz .LBB35_31
; %bb.1:
	s_load_dwordx2 s[0:1], s[4:5], 0x18
	v_lshlrev_b32_e32 v1, 3, v13
	v_mov_b32_e32 v14, 3
	s_mov_b64 s[10:11], -1
	s_mov_b64 s[8:9], 0
	s_waitcnt lgkmcnt(0)
	global_load_dwordx4 v[5:8], v1, s[0:1]
	s_load_dwordx2 s[0:1], s[0:1], 0x0
	s_waitcnt lgkmcnt(0)
	v_mov_b32_e32 v4, s1
	s_waitcnt vmcnt(0)
	v_subrev_co_u32_e32 v1, vcc, s0, v5
	v_subb_co_u32_e32 v2, vcc, v6, v4, vcc
	v_subrev_co_u32_e32 v3, vcc, s0, v7
	v_subb_co_u32_e32 v4, vcc, v8, v4, vcc
	v_cmp_gt_i64_e64 s[0:1], 0, v[3:4]
	v_cmp_lt_i64_e64 s[2:3], v[7:8], v[5:6]
	v_cmp_lt_i64_e32 vcc, -1, v[1:2]
	s_or_b64 s[0:1], s[0:1], s[2:3]
	s_xor_b64 s[0:1], s[0:1], -1
	s_and_b64 s[0:1], vcc, s[0:1]
	s_and_saveexec_b64 s[6:7], s[0:1]
	s_cbranch_execz .LBB35_29
; %bb.2:
	v_and_b32_e32 v0, 31, v0
	v_add_co_u32_e32 v5, vcc, v1, v0
	v_addc_co_u32_e32 v6, vcc, 0, v2, vcc
	v_cmp_lt_u64_e32 vcc, v[5:6], v[3:4]
	v_mov_b32_e32 v14, 3
	s_and_saveexec_b64 s[18:19], vcc
	s_cbranch_execz .LBB35_28
; %bb.3:
	s_load_dwordx8 s[8:15], s[4:5], 0x20
	s_load_dwordx2 s[0:1], s[4:5], 0x10
	v_lshlrev_b64 v[11:12], 2, v[5:6]
                                        ; implicit-def: $sgpr24_sgpr25
                                        ; implicit-def: $sgpr26_sgpr27
	s_waitcnt lgkmcnt(0)
	v_mov_b32_e32 v0, s11
	v_add_co_u32_e32 v7, vcc, s10, v11
	v_addc_co_u32_e32 v0, vcc, v0, v12, vcc
	v_add_co_u32_e32 v7, vcc, -4, v7
	v_addc_co_u32_e32 v8, vcc, -1, v0, vcc
	s_cmp_lg_u32 s13, 0
	v_mov_b32_e32 v0, s1
	v_add_co_u32_e32 v9, vcc, s0, v11
	s_cselect_b64 s[20:21], -1, 0
	s_cmp_lg_u32 s14, 0
	v_addc_co_u32_e32 v10, vcc, v0, v12, vcc
	s_cselect_b64 s[22:23], -1, 0
	s_cmp_lg_u32 s15, 0
	v_mov_b32_e32 v0, s9
	v_add_co_u32_e32 v11, vcc, s8, v11
	s_cselect_b64 s[14:15], -1, 0
	v_addc_co_u32_e32 v12, vcc, v0, v12, vcc
	s_mov_b64 s[8:9], 0
	s_mov_b32 s13, 0x7f800000
                                        ; implicit-def: $sgpr10_sgpr11
	s_branch .LBB35_10
.LBB35_4:                               ;   in Loop: Header=BB35_10 Depth=1
	s_or_b64 exec, exec, s[0:1]
	s_orn2_b64 s[42:43], s[2:3], exec
	s_orn2_b64 s[0:1], s[38:39], exec
.LBB35_5:                               ;   in Loop: Header=BB35_10 Depth=1
	s_or_b64 exec, exec, s[40:41]
	s_orn2_b64 s[2:3], s[42:43], exec
	s_orn2_b64 s[0:1], s[0:1], exec
.LBB35_6:                               ;   in Loop: Header=BB35_10 Depth=1
	s_or_b64 exec, exec, s[36:37]
	s_orn2_b64 s[2:3], s[2:3], exec
	s_orn2_b64 s[0:1], s[0:1], exec
.LBB35_7:                               ;   in Loop: Header=BB35_10 Depth=1
	s_or_b64 exec, exec, s[34:35]
	s_orn2_b64 s[2:3], s[2:3], exec
	s_orn2_b64 s[0:1], s[0:1], exec
.LBB35_8:                               ;   in Loop: Header=BB35_10 Depth=1
	s_or_b64 exec, exec, s[30:31]
	s_andn2_b64 s[26:27], s[26:27], exec
	s_and_b64 s[2:3], s[2:3], exec
	s_or_b64 s[26:27], s[26:27], s[2:3]
	s_andn2_b64 s[2:3], s[24:25], exec
	s_and_b64 s[0:1], s[0:1], exec
	s_or_b64 s[24:25], s[2:3], s[0:1]
.LBB35_9:                               ;   in Loop: Header=BB35_10 Depth=1
	s_or_b64 exec, exec, s[28:29]
	s_and_b64 s[0:1], exec, s[24:25]
	s_or_b64 s[8:9], s[0:1], s[8:9]
	s_andn2_b64 s[0:1], s[10:11], exec
	s_and_b64 s[2:3], s[26:27], exec
	s_or_b64 s[10:11], s[0:1], s[2:3]
	s_andn2_b64 exec, exec, s[8:9]
	s_cbranch_execz .LBB35_27
.LBB35_10:                              ; =>This Inner Loop Header: Depth=1
	global_load_dword v0, v[11:12], off
	v_mov_b32_e32 v14, 4
	s_or_b64 s[26:27], s[26:27], exec
	s_or_b64 s[24:25], s[24:25], exec
	s_waitcnt vmcnt(0)
	v_subrev_u32_e32 v15, s12, v0
	v_cmp_lt_i32_e32 vcc, -1, v15
	v_cmp_gt_i32_e64 s[0:1], s17, v15
	s_and_b64 s[0:1], vcc, s[0:1]
	s_and_saveexec_b64 s[28:29], s[0:1]
	s_cbranch_execz .LBB35_9
; %bb.11:                               ;   in Loop: Header=BB35_10 Depth=1
	v_cmp_le_i64_e64 s[38:39], v[5:6], v[1:2]
	v_cmp_gt_i64_e32 vcc, v[5:6], v[1:2]
	v_mov_b32_e32 v14, 4
	s_mov_b64 s[34:35], s[38:39]
	s_and_saveexec_b64 s[30:31], vcc
	s_cbranch_execz .LBB35_13
; %bb.12:                               ;   in Loop: Header=BB35_10 Depth=1
	global_load_dwordx2 v[16:17], v[7:8], off
	v_mov_b32_e32 v14, 5
	s_waitcnt vmcnt(0)
	v_subrev_u32_e32 v18, s12, v16
	v_cmp_lt_i32_e64 s[0:1], -1, v18
	v_cmp_gt_i32_e64 s[2:3], s17, v18
	s_and_b64 s[0:1], s[0:1], s[2:3]
	v_cmp_ne_u32_e32 vcc, v17, v16
	s_xor_b64 s[0:1], s[0:1], -1
	s_or_b64 s[0:1], vcc, s[0:1]
	s_andn2_b64 s[2:3], s[38:39], exec
	s_and_b64 s[0:1], s[0:1], exec
	s_or_b64 s[34:35], s[2:3], s[0:1]
.LBB35_13:                              ;   in Loop: Header=BB35_10 Depth=1
	s_or_b64 exec, exec, s[30:31]
	s_mov_b64 s[0:1], -1
	s_mov_b64 s[2:3], -1
	s_and_saveexec_b64 s[30:31], s[34:35]
	s_cbranch_execz .LBB35_8
; %bb.14:                               ;   in Loop: Header=BB35_10 Depth=1
	global_load_dword v16, v[9:10], off
	v_mov_b32_e32 v14, 1
	s_waitcnt vmcnt(0)
	v_cmp_neq_f32_e32 vcc, s13, v16
	s_and_saveexec_b64 s[34:35], vcc
	s_cbranch_execz .LBB35_7
; %bb.15:                               ;   in Loop: Header=BB35_10 Depth=1
	v_cmp_o_f32_e32 vcc, v16, v16
	v_mov_b32_e32 v14, 2
	s_and_saveexec_b64 s[36:37], vcc
	s_cbranch_execz .LBB35_6
; %bb.16:                               ;   in Loop: Header=BB35_10 Depth=1
	s_and_b64 vcc, exec, s[20:21]
	s_cbranch_vccz .LBB35_19
; %bb.17:                               ;   in Loop: Header=BB35_10 Depth=1
	s_and_b64 vcc, exec, s[22:23]
	s_cbranch_vccz .LBB35_20
; %bb.18:                               ;   in Loop: Header=BB35_10 Depth=1
	v_cmp_le_i32_e32 vcc, v13, v15
	s_mov_b32 s16, 7
	s_and_b64 s[2:3], vcc, exec
	s_cbranch_execz .LBB35_21
	s_branch .LBB35_22
.LBB35_19:                              ;   in Loop: Header=BB35_10 Depth=1
	s_mov_b32 s16, 2
	s_branch .LBB35_22
.LBB35_20:                              ;   in Loop: Header=BB35_10 Depth=1
	s_mov_b64 s[2:3], 0
	s_mov_b32 s16, 2
.LBB35_21:                              ;   in Loop: Header=BB35_10 Depth=1
	v_cmp_ge_i32_e32 vcc, v13, v15
	s_andn2_b64 s[2:3], s[2:3], exec
	s_and_b64 s[40:41], vcc, exec
	s_mov_b32 s16, 7
	s_or_b64 s[2:3], s[2:3], s[40:41]
.LBB35_22:                              ;   in Loop: Header=BB35_10 Depth=1
	v_mov_b32_e32 v14, s16
	s_mov_b64 s[42:43], -1
	s_and_saveexec_b64 s[40:41], s[2:3]
	s_cbranch_execz .LBB35_5
; %bb.23:                               ;   in Loop: Header=BB35_10 Depth=1
	s_nor_b64 s[0:1], s[14:15], s[38:39]
	s_mov_b64 s[38:39], -1
	v_mov_b32_e32 v14, s16
	s_and_saveexec_b64 s[44:45], s[0:1]
	s_cbranch_execz .LBB35_25
; %bb.24:                               ;   in Loop: Header=BB35_10 Depth=1
	global_load_dword v14, v[11:12], off offset:-4
	s_waitcnt vmcnt(0)
	v_subrev_u32_e32 v15, s12, v14
	v_cmp_lt_i32_e64 s[0:1], -1, v15
	v_cmp_gt_i32_e64 s[2:3], s17, v15
	s_and_b64 s[0:1], s[0:1], s[2:3]
	v_cmp_gt_i32_e32 vcc, v0, v14
	s_xor_b64 s[0:1], s[0:1], -1
	s_or_b64 s[0:1], vcc, s[0:1]
	v_mov_b32_e32 v14, 6
	s_orn2_b64 s[42:43], s[0:1], exec
.LBB35_25:                              ;   in Loop: Header=BB35_10 Depth=1
	s_or_b64 exec, exec, s[44:45]
	s_mov_b64 s[2:3], -1
	s_and_saveexec_b64 s[0:1], s[42:43]
	s_cbranch_execz .LBB35_4
; %bb.26:                               ;   in Loop: Header=BB35_10 Depth=1
	v_add_co_u32_e32 v5, vcc, 32, v5
	v_addc_co_u32_e32 v6, vcc, 0, v6, vcc
	v_add_co_u32_e32 v7, vcc, 0x80, v7
	v_addc_co_u32_e32 v8, vcc, 0, v8, vcc
	;; [unrolled: 2-line block ×4, first 2 shown]
	v_cmp_ge_i64_e32 vcc, v[5:6], v[3:4]
	s_xor_b64 s[2:3], exec, -1
	s_orn2_b64 s[38:39], vcc, exec
	s_branch .LBB35_4
.LBB35_27:
	s_or_b64 exec, exec, s[8:9]
	s_and_b64 s[8:9], s[10:11], exec
.LBB35_28:
	s_or_b64 exec, exec, s[18:19]
	s_orn2_b64 s[10:11], s[8:9], exec
.LBB35_29:
	s_or_b64 exec, exec, s[6:7]
	s_and_b64 exec, exec, s[10:11]
	s_cbranch_execz .LBB35_31
; %bb.30:
	s_load_dwordx2 s[0:1], s[4:5], 0x40
	v_mov_b32_e32 v0, 0
	s_waitcnt lgkmcnt(0)
	global_store_dword v0, v14, s[0:1]
.LBB35_31:
	s_endpgm
	.section	.rodata,"a",@progbits
	.p2align	6, 0x0
	.amdhsa_kernel _ZN9rocsparseL23check_matrix_csr_deviceILj256ELj32EfliEEvT3_S1_T2_PKT1_PKS2_PKS1_S9_21rocsparse_index_base_22rocsparse_matrix_type_20rocsparse_fill_mode_23rocsparse_storage_mode_P22rocsparse_data_status_
		.amdhsa_group_segment_fixed_size 0
		.amdhsa_private_segment_fixed_size 0
		.amdhsa_kernarg_size 72
		.amdhsa_user_sgpr_count 6
		.amdhsa_user_sgpr_private_segment_buffer 1
		.amdhsa_user_sgpr_dispatch_ptr 0
		.amdhsa_user_sgpr_queue_ptr 0
		.amdhsa_user_sgpr_kernarg_segment_ptr 1
		.amdhsa_user_sgpr_dispatch_id 0
		.amdhsa_user_sgpr_flat_scratch_init 0
		.amdhsa_user_sgpr_private_segment_size 0
		.amdhsa_uses_dynamic_stack 0
		.amdhsa_system_sgpr_private_segment_wavefront_offset 0
		.amdhsa_system_sgpr_workgroup_id_x 1
		.amdhsa_system_sgpr_workgroup_id_y 0
		.amdhsa_system_sgpr_workgroup_id_z 0
		.amdhsa_system_sgpr_workgroup_info 0
		.amdhsa_system_vgpr_workitem_id 0
		.amdhsa_next_free_vgpr 19
		.amdhsa_next_free_sgpr 46
		.amdhsa_reserve_vcc 1
		.amdhsa_reserve_flat_scratch 0
		.amdhsa_float_round_mode_32 0
		.amdhsa_float_round_mode_16_64 0
		.amdhsa_float_denorm_mode_32 3
		.amdhsa_float_denorm_mode_16_64 3
		.amdhsa_dx10_clamp 1
		.amdhsa_ieee_mode 1
		.amdhsa_fp16_overflow 0
		.amdhsa_exception_fp_ieee_invalid_op 0
		.amdhsa_exception_fp_denorm_src 0
		.amdhsa_exception_fp_ieee_div_zero 0
		.amdhsa_exception_fp_ieee_overflow 0
		.amdhsa_exception_fp_ieee_underflow 0
		.amdhsa_exception_fp_ieee_inexact 0
		.amdhsa_exception_int_div_zero 0
	.end_amdhsa_kernel
	.section	.text._ZN9rocsparseL23check_matrix_csr_deviceILj256ELj32EfliEEvT3_S1_T2_PKT1_PKS2_PKS1_S9_21rocsparse_index_base_22rocsparse_matrix_type_20rocsparse_fill_mode_23rocsparse_storage_mode_P22rocsparse_data_status_,"axG",@progbits,_ZN9rocsparseL23check_matrix_csr_deviceILj256ELj32EfliEEvT3_S1_T2_PKT1_PKS2_PKS1_S9_21rocsparse_index_base_22rocsparse_matrix_type_20rocsparse_fill_mode_23rocsparse_storage_mode_P22rocsparse_data_status_,comdat
.Lfunc_end35:
	.size	_ZN9rocsparseL23check_matrix_csr_deviceILj256ELj32EfliEEvT3_S1_T2_PKT1_PKS2_PKS1_S9_21rocsparse_index_base_22rocsparse_matrix_type_20rocsparse_fill_mode_23rocsparse_storage_mode_P22rocsparse_data_status_, .Lfunc_end35-_ZN9rocsparseL23check_matrix_csr_deviceILj256ELj32EfliEEvT3_S1_T2_PKT1_PKS2_PKS1_S9_21rocsparse_index_base_22rocsparse_matrix_type_20rocsparse_fill_mode_23rocsparse_storage_mode_P22rocsparse_data_status_
                                        ; -- End function
	.set _ZN9rocsparseL23check_matrix_csr_deviceILj256ELj32EfliEEvT3_S1_T2_PKT1_PKS2_PKS1_S9_21rocsparse_index_base_22rocsparse_matrix_type_20rocsparse_fill_mode_23rocsparse_storage_mode_P22rocsparse_data_status_.num_vgpr, 19
	.set _ZN9rocsparseL23check_matrix_csr_deviceILj256ELj32EfliEEvT3_S1_T2_PKT1_PKS2_PKS1_S9_21rocsparse_index_base_22rocsparse_matrix_type_20rocsparse_fill_mode_23rocsparse_storage_mode_P22rocsparse_data_status_.num_agpr, 0
	.set _ZN9rocsparseL23check_matrix_csr_deviceILj256ELj32EfliEEvT3_S1_T2_PKT1_PKS2_PKS1_S9_21rocsparse_index_base_22rocsparse_matrix_type_20rocsparse_fill_mode_23rocsparse_storage_mode_P22rocsparse_data_status_.numbered_sgpr, 46
	.set _ZN9rocsparseL23check_matrix_csr_deviceILj256ELj32EfliEEvT3_S1_T2_PKT1_PKS2_PKS1_S9_21rocsparse_index_base_22rocsparse_matrix_type_20rocsparse_fill_mode_23rocsparse_storage_mode_P22rocsparse_data_status_.num_named_barrier, 0
	.set _ZN9rocsparseL23check_matrix_csr_deviceILj256ELj32EfliEEvT3_S1_T2_PKT1_PKS2_PKS1_S9_21rocsparse_index_base_22rocsparse_matrix_type_20rocsparse_fill_mode_23rocsparse_storage_mode_P22rocsparse_data_status_.private_seg_size, 0
	.set _ZN9rocsparseL23check_matrix_csr_deviceILj256ELj32EfliEEvT3_S1_T2_PKT1_PKS2_PKS1_S9_21rocsparse_index_base_22rocsparse_matrix_type_20rocsparse_fill_mode_23rocsparse_storage_mode_P22rocsparse_data_status_.uses_vcc, 1
	.set _ZN9rocsparseL23check_matrix_csr_deviceILj256ELj32EfliEEvT3_S1_T2_PKT1_PKS2_PKS1_S9_21rocsparse_index_base_22rocsparse_matrix_type_20rocsparse_fill_mode_23rocsparse_storage_mode_P22rocsparse_data_status_.uses_flat_scratch, 0
	.set _ZN9rocsparseL23check_matrix_csr_deviceILj256ELj32EfliEEvT3_S1_T2_PKT1_PKS2_PKS1_S9_21rocsparse_index_base_22rocsparse_matrix_type_20rocsparse_fill_mode_23rocsparse_storage_mode_P22rocsparse_data_status_.has_dyn_sized_stack, 0
	.set _ZN9rocsparseL23check_matrix_csr_deviceILj256ELj32EfliEEvT3_S1_T2_PKT1_PKS2_PKS1_S9_21rocsparse_index_base_22rocsparse_matrix_type_20rocsparse_fill_mode_23rocsparse_storage_mode_P22rocsparse_data_status_.has_recursion, 0
	.set _ZN9rocsparseL23check_matrix_csr_deviceILj256ELj32EfliEEvT3_S1_T2_PKT1_PKS2_PKS1_S9_21rocsparse_index_base_22rocsparse_matrix_type_20rocsparse_fill_mode_23rocsparse_storage_mode_P22rocsparse_data_status_.has_indirect_call, 0
	.section	.AMDGPU.csdata,"",@progbits
; Kernel info:
; codeLenInByte = 900
; TotalNumSgprs: 50
; NumVgprs: 19
; ScratchSize: 0
; MemoryBound: 0
; FloatMode: 240
; IeeeMode: 1
; LDSByteSize: 0 bytes/workgroup (compile time only)
; SGPRBlocks: 6
; VGPRBlocks: 4
; NumSGPRsForWavesPerEU: 50
; NumVGPRsForWavesPerEU: 19
; Occupancy: 10
; WaveLimiterHint : 0
; COMPUTE_PGM_RSRC2:SCRATCH_EN: 0
; COMPUTE_PGM_RSRC2:USER_SGPR: 6
; COMPUTE_PGM_RSRC2:TRAP_HANDLER: 0
; COMPUTE_PGM_RSRC2:TGID_X_EN: 1
; COMPUTE_PGM_RSRC2:TGID_Y_EN: 0
; COMPUTE_PGM_RSRC2:TGID_Z_EN: 0
; COMPUTE_PGM_RSRC2:TIDIG_COMP_CNT: 0
	.section	.text._ZN9rocsparseL23check_matrix_csr_deviceILj256ELj64EfliEEvT3_S1_T2_PKT1_PKS2_PKS1_S9_21rocsparse_index_base_22rocsparse_matrix_type_20rocsparse_fill_mode_23rocsparse_storage_mode_P22rocsparse_data_status_,"axG",@progbits,_ZN9rocsparseL23check_matrix_csr_deviceILj256ELj64EfliEEvT3_S1_T2_PKT1_PKS2_PKS1_S9_21rocsparse_index_base_22rocsparse_matrix_type_20rocsparse_fill_mode_23rocsparse_storage_mode_P22rocsparse_data_status_,comdat
	.globl	_ZN9rocsparseL23check_matrix_csr_deviceILj256ELj64EfliEEvT3_S1_T2_PKT1_PKS2_PKS1_S9_21rocsparse_index_base_22rocsparse_matrix_type_20rocsparse_fill_mode_23rocsparse_storage_mode_P22rocsparse_data_status_ ; -- Begin function _ZN9rocsparseL23check_matrix_csr_deviceILj256ELj64EfliEEvT3_S1_T2_PKT1_PKS2_PKS1_S9_21rocsparse_index_base_22rocsparse_matrix_type_20rocsparse_fill_mode_23rocsparse_storage_mode_P22rocsparse_data_status_
	.p2align	8
	.type	_ZN9rocsparseL23check_matrix_csr_deviceILj256ELj64EfliEEvT3_S1_T2_PKT1_PKS2_PKS1_S9_21rocsparse_index_base_22rocsparse_matrix_type_20rocsparse_fill_mode_23rocsparse_storage_mode_P22rocsparse_data_status_,@function
_ZN9rocsparseL23check_matrix_csr_deviceILj256ELj64EfliEEvT3_S1_T2_PKT1_PKS2_PKS1_S9_21rocsparse_index_base_22rocsparse_matrix_type_20rocsparse_fill_mode_23rocsparse_storage_mode_P22rocsparse_data_status_: ; @_ZN9rocsparseL23check_matrix_csr_deviceILj256ELj64EfliEEvT3_S1_T2_PKT1_PKS2_PKS1_S9_21rocsparse_index_base_22rocsparse_matrix_type_20rocsparse_fill_mode_23rocsparse_storage_mode_P22rocsparse_data_status_
; %bb.0:
	s_load_dwordx2 s[16:17], s[4:5], 0x0
	v_lshl_or_b32 v1, s6, 8, v0
	v_lshrrev_b32_e32 v13, 6, v1
	s_waitcnt lgkmcnt(0)
	v_cmp_gt_i32_e32 vcc, s16, v13
	s_and_saveexec_b64 s[0:1], vcc
	s_cbranch_execz .LBB36_31
; %bb.1:
	s_load_dwordx2 s[0:1], s[4:5], 0x18
	v_lshlrev_b32_e32 v1, 3, v13
	v_mov_b32_e32 v14, 3
	s_mov_b64 s[10:11], -1
	s_mov_b64 s[8:9], 0
	s_waitcnt lgkmcnt(0)
	global_load_dwordx4 v[5:8], v1, s[0:1]
	s_load_dwordx2 s[0:1], s[0:1], 0x0
	s_waitcnt lgkmcnt(0)
	v_mov_b32_e32 v4, s1
	s_waitcnt vmcnt(0)
	v_subrev_co_u32_e32 v1, vcc, s0, v5
	v_subb_co_u32_e32 v2, vcc, v6, v4, vcc
	v_subrev_co_u32_e32 v3, vcc, s0, v7
	v_subb_co_u32_e32 v4, vcc, v8, v4, vcc
	v_cmp_gt_i64_e64 s[0:1], 0, v[3:4]
	v_cmp_lt_i64_e64 s[2:3], v[7:8], v[5:6]
	v_cmp_lt_i64_e32 vcc, -1, v[1:2]
	s_or_b64 s[0:1], s[0:1], s[2:3]
	s_xor_b64 s[0:1], s[0:1], -1
	s_and_b64 s[0:1], vcc, s[0:1]
	s_and_saveexec_b64 s[6:7], s[0:1]
	s_cbranch_execz .LBB36_29
; %bb.2:
	v_and_b32_e32 v0, 63, v0
	v_add_co_u32_e32 v5, vcc, v1, v0
	v_addc_co_u32_e32 v6, vcc, 0, v2, vcc
	v_cmp_lt_u64_e32 vcc, v[5:6], v[3:4]
	v_mov_b32_e32 v14, 3
	s_and_saveexec_b64 s[18:19], vcc
	s_cbranch_execz .LBB36_28
; %bb.3:
	s_load_dwordx8 s[8:15], s[4:5], 0x20
	s_load_dwordx2 s[0:1], s[4:5], 0x10
	v_lshlrev_b64 v[11:12], 2, v[5:6]
                                        ; implicit-def: $sgpr24_sgpr25
                                        ; implicit-def: $sgpr26_sgpr27
	s_waitcnt lgkmcnt(0)
	v_mov_b32_e32 v0, s11
	v_add_co_u32_e32 v7, vcc, s10, v11
	v_addc_co_u32_e32 v0, vcc, v0, v12, vcc
	v_add_co_u32_e32 v7, vcc, -4, v7
	v_addc_co_u32_e32 v8, vcc, -1, v0, vcc
	s_cmp_lg_u32 s13, 0
	v_mov_b32_e32 v0, s1
	v_add_co_u32_e32 v9, vcc, s0, v11
	s_cselect_b64 s[20:21], -1, 0
	s_cmp_lg_u32 s14, 0
	v_addc_co_u32_e32 v10, vcc, v0, v12, vcc
	s_cselect_b64 s[22:23], -1, 0
	s_cmp_lg_u32 s15, 0
	v_mov_b32_e32 v0, s9
	v_add_co_u32_e32 v11, vcc, s8, v11
	s_cselect_b64 s[14:15], -1, 0
	v_addc_co_u32_e32 v12, vcc, v0, v12, vcc
	s_mov_b64 s[8:9], 0
	s_mov_b32 s13, 0x7f800000
                                        ; implicit-def: $sgpr10_sgpr11
	s_branch .LBB36_10
.LBB36_4:                               ;   in Loop: Header=BB36_10 Depth=1
	s_or_b64 exec, exec, s[0:1]
	s_orn2_b64 s[42:43], s[2:3], exec
	s_orn2_b64 s[0:1], s[38:39], exec
.LBB36_5:                               ;   in Loop: Header=BB36_10 Depth=1
	s_or_b64 exec, exec, s[40:41]
	s_orn2_b64 s[2:3], s[42:43], exec
	s_orn2_b64 s[0:1], s[0:1], exec
.LBB36_6:                               ;   in Loop: Header=BB36_10 Depth=1
	s_or_b64 exec, exec, s[36:37]
	s_orn2_b64 s[2:3], s[2:3], exec
	s_orn2_b64 s[0:1], s[0:1], exec
.LBB36_7:                               ;   in Loop: Header=BB36_10 Depth=1
	s_or_b64 exec, exec, s[34:35]
	s_orn2_b64 s[2:3], s[2:3], exec
	s_orn2_b64 s[0:1], s[0:1], exec
.LBB36_8:                               ;   in Loop: Header=BB36_10 Depth=1
	s_or_b64 exec, exec, s[30:31]
	s_andn2_b64 s[26:27], s[26:27], exec
	s_and_b64 s[2:3], s[2:3], exec
	s_or_b64 s[26:27], s[26:27], s[2:3]
	s_andn2_b64 s[2:3], s[24:25], exec
	s_and_b64 s[0:1], s[0:1], exec
	s_or_b64 s[24:25], s[2:3], s[0:1]
.LBB36_9:                               ;   in Loop: Header=BB36_10 Depth=1
	s_or_b64 exec, exec, s[28:29]
	s_and_b64 s[0:1], exec, s[24:25]
	s_or_b64 s[8:9], s[0:1], s[8:9]
	s_andn2_b64 s[0:1], s[10:11], exec
	s_and_b64 s[2:3], s[26:27], exec
	s_or_b64 s[10:11], s[0:1], s[2:3]
	s_andn2_b64 exec, exec, s[8:9]
	s_cbranch_execz .LBB36_27
.LBB36_10:                              ; =>This Inner Loop Header: Depth=1
	global_load_dword v0, v[11:12], off
	v_mov_b32_e32 v14, 4
	s_or_b64 s[26:27], s[26:27], exec
	s_or_b64 s[24:25], s[24:25], exec
	s_waitcnt vmcnt(0)
	v_subrev_u32_e32 v15, s12, v0
	v_cmp_lt_i32_e32 vcc, -1, v15
	v_cmp_gt_i32_e64 s[0:1], s17, v15
	s_and_b64 s[0:1], vcc, s[0:1]
	s_and_saveexec_b64 s[28:29], s[0:1]
	s_cbranch_execz .LBB36_9
; %bb.11:                               ;   in Loop: Header=BB36_10 Depth=1
	v_cmp_le_i64_e64 s[38:39], v[5:6], v[1:2]
	v_cmp_gt_i64_e32 vcc, v[5:6], v[1:2]
	v_mov_b32_e32 v14, 4
	s_mov_b64 s[34:35], s[38:39]
	s_and_saveexec_b64 s[30:31], vcc
	s_cbranch_execz .LBB36_13
; %bb.12:                               ;   in Loop: Header=BB36_10 Depth=1
	global_load_dwordx2 v[16:17], v[7:8], off
	v_mov_b32_e32 v14, 5
	s_waitcnt vmcnt(0)
	v_subrev_u32_e32 v18, s12, v16
	v_cmp_lt_i32_e64 s[0:1], -1, v18
	v_cmp_gt_i32_e64 s[2:3], s17, v18
	s_and_b64 s[0:1], s[0:1], s[2:3]
	v_cmp_ne_u32_e32 vcc, v17, v16
	s_xor_b64 s[0:1], s[0:1], -1
	s_or_b64 s[0:1], vcc, s[0:1]
	s_andn2_b64 s[2:3], s[38:39], exec
	s_and_b64 s[0:1], s[0:1], exec
	s_or_b64 s[34:35], s[2:3], s[0:1]
.LBB36_13:                              ;   in Loop: Header=BB36_10 Depth=1
	s_or_b64 exec, exec, s[30:31]
	s_mov_b64 s[0:1], -1
	s_mov_b64 s[2:3], -1
	s_and_saveexec_b64 s[30:31], s[34:35]
	s_cbranch_execz .LBB36_8
; %bb.14:                               ;   in Loop: Header=BB36_10 Depth=1
	global_load_dword v16, v[9:10], off
	v_mov_b32_e32 v14, 1
	s_waitcnt vmcnt(0)
	v_cmp_neq_f32_e32 vcc, s13, v16
	s_and_saveexec_b64 s[34:35], vcc
	s_cbranch_execz .LBB36_7
; %bb.15:                               ;   in Loop: Header=BB36_10 Depth=1
	v_cmp_o_f32_e32 vcc, v16, v16
	v_mov_b32_e32 v14, 2
	s_and_saveexec_b64 s[36:37], vcc
	s_cbranch_execz .LBB36_6
; %bb.16:                               ;   in Loop: Header=BB36_10 Depth=1
	s_and_b64 vcc, exec, s[20:21]
	s_cbranch_vccz .LBB36_19
; %bb.17:                               ;   in Loop: Header=BB36_10 Depth=1
	s_and_b64 vcc, exec, s[22:23]
	s_cbranch_vccz .LBB36_20
; %bb.18:                               ;   in Loop: Header=BB36_10 Depth=1
	v_cmp_le_i32_e32 vcc, v13, v15
	s_mov_b32 s16, 7
	s_and_b64 s[2:3], vcc, exec
	s_cbranch_execz .LBB36_21
	s_branch .LBB36_22
.LBB36_19:                              ;   in Loop: Header=BB36_10 Depth=1
	s_mov_b32 s16, 2
	s_branch .LBB36_22
.LBB36_20:                              ;   in Loop: Header=BB36_10 Depth=1
	s_mov_b64 s[2:3], 0
	s_mov_b32 s16, 2
.LBB36_21:                              ;   in Loop: Header=BB36_10 Depth=1
	v_cmp_ge_i32_e32 vcc, v13, v15
	s_andn2_b64 s[2:3], s[2:3], exec
	s_and_b64 s[40:41], vcc, exec
	s_mov_b32 s16, 7
	s_or_b64 s[2:3], s[2:3], s[40:41]
.LBB36_22:                              ;   in Loop: Header=BB36_10 Depth=1
	v_mov_b32_e32 v14, s16
	s_mov_b64 s[42:43], -1
	s_and_saveexec_b64 s[40:41], s[2:3]
	s_cbranch_execz .LBB36_5
; %bb.23:                               ;   in Loop: Header=BB36_10 Depth=1
	s_nor_b64 s[0:1], s[14:15], s[38:39]
	s_mov_b64 s[38:39], -1
	v_mov_b32_e32 v14, s16
	s_and_saveexec_b64 s[44:45], s[0:1]
	s_cbranch_execz .LBB36_25
; %bb.24:                               ;   in Loop: Header=BB36_10 Depth=1
	global_load_dword v14, v[11:12], off offset:-4
	s_waitcnt vmcnt(0)
	v_subrev_u32_e32 v15, s12, v14
	v_cmp_lt_i32_e64 s[0:1], -1, v15
	v_cmp_gt_i32_e64 s[2:3], s17, v15
	s_and_b64 s[0:1], s[0:1], s[2:3]
	v_cmp_gt_i32_e32 vcc, v0, v14
	s_xor_b64 s[0:1], s[0:1], -1
	s_or_b64 s[0:1], vcc, s[0:1]
	v_mov_b32_e32 v14, 6
	s_orn2_b64 s[42:43], s[0:1], exec
.LBB36_25:                              ;   in Loop: Header=BB36_10 Depth=1
	s_or_b64 exec, exec, s[44:45]
	s_mov_b64 s[2:3], -1
	s_and_saveexec_b64 s[0:1], s[42:43]
	s_cbranch_execz .LBB36_4
; %bb.26:                               ;   in Loop: Header=BB36_10 Depth=1
	v_add_co_u32_e32 v5, vcc, 64, v5
	v_addc_co_u32_e32 v6, vcc, 0, v6, vcc
	v_add_co_u32_e32 v7, vcc, 0x100, v7
	v_addc_co_u32_e32 v8, vcc, 0, v8, vcc
	;; [unrolled: 2-line block ×4, first 2 shown]
	v_cmp_ge_i64_e32 vcc, v[5:6], v[3:4]
	s_xor_b64 s[2:3], exec, -1
	s_orn2_b64 s[38:39], vcc, exec
	s_branch .LBB36_4
.LBB36_27:
	s_or_b64 exec, exec, s[8:9]
	s_and_b64 s[8:9], s[10:11], exec
.LBB36_28:
	s_or_b64 exec, exec, s[18:19]
	s_orn2_b64 s[10:11], s[8:9], exec
.LBB36_29:
	s_or_b64 exec, exec, s[6:7]
	s_and_b64 exec, exec, s[10:11]
	s_cbranch_execz .LBB36_31
; %bb.30:
	s_load_dwordx2 s[0:1], s[4:5], 0x40
	v_mov_b32_e32 v0, 0
	s_waitcnt lgkmcnt(0)
	global_store_dword v0, v14, s[0:1]
.LBB36_31:
	s_endpgm
	.section	.rodata,"a",@progbits
	.p2align	6, 0x0
	.amdhsa_kernel _ZN9rocsparseL23check_matrix_csr_deviceILj256ELj64EfliEEvT3_S1_T2_PKT1_PKS2_PKS1_S9_21rocsparse_index_base_22rocsparse_matrix_type_20rocsparse_fill_mode_23rocsparse_storage_mode_P22rocsparse_data_status_
		.amdhsa_group_segment_fixed_size 0
		.amdhsa_private_segment_fixed_size 0
		.amdhsa_kernarg_size 72
		.amdhsa_user_sgpr_count 6
		.amdhsa_user_sgpr_private_segment_buffer 1
		.amdhsa_user_sgpr_dispatch_ptr 0
		.amdhsa_user_sgpr_queue_ptr 0
		.amdhsa_user_sgpr_kernarg_segment_ptr 1
		.amdhsa_user_sgpr_dispatch_id 0
		.amdhsa_user_sgpr_flat_scratch_init 0
		.amdhsa_user_sgpr_private_segment_size 0
		.amdhsa_uses_dynamic_stack 0
		.amdhsa_system_sgpr_private_segment_wavefront_offset 0
		.amdhsa_system_sgpr_workgroup_id_x 1
		.amdhsa_system_sgpr_workgroup_id_y 0
		.amdhsa_system_sgpr_workgroup_id_z 0
		.amdhsa_system_sgpr_workgroup_info 0
		.amdhsa_system_vgpr_workitem_id 0
		.amdhsa_next_free_vgpr 19
		.amdhsa_next_free_sgpr 46
		.amdhsa_reserve_vcc 1
		.amdhsa_reserve_flat_scratch 0
		.amdhsa_float_round_mode_32 0
		.amdhsa_float_round_mode_16_64 0
		.amdhsa_float_denorm_mode_32 3
		.amdhsa_float_denorm_mode_16_64 3
		.amdhsa_dx10_clamp 1
		.amdhsa_ieee_mode 1
		.amdhsa_fp16_overflow 0
		.amdhsa_exception_fp_ieee_invalid_op 0
		.amdhsa_exception_fp_denorm_src 0
		.amdhsa_exception_fp_ieee_div_zero 0
		.amdhsa_exception_fp_ieee_overflow 0
		.amdhsa_exception_fp_ieee_underflow 0
		.amdhsa_exception_fp_ieee_inexact 0
		.amdhsa_exception_int_div_zero 0
	.end_amdhsa_kernel
	.section	.text._ZN9rocsparseL23check_matrix_csr_deviceILj256ELj64EfliEEvT3_S1_T2_PKT1_PKS2_PKS1_S9_21rocsparse_index_base_22rocsparse_matrix_type_20rocsparse_fill_mode_23rocsparse_storage_mode_P22rocsparse_data_status_,"axG",@progbits,_ZN9rocsparseL23check_matrix_csr_deviceILj256ELj64EfliEEvT3_S1_T2_PKT1_PKS2_PKS1_S9_21rocsparse_index_base_22rocsparse_matrix_type_20rocsparse_fill_mode_23rocsparse_storage_mode_P22rocsparse_data_status_,comdat
.Lfunc_end36:
	.size	_ZN9rocsparseL23check_matrix_csr_deviceILj256ELj64EfliEEvT3_S1_T2_PKT1_PKS2_PKS1_S9_21rocsparse_index_base_22rocsparse_matrix_type_20rocsparse_fill_mode_23rocsparse_storage_mode_P22rocsparse_data_status_, .Lfunc_end36-_ZN9rocsparseL23check_matrix_csr_deviceILj256ELj64EfliEEvT3_S1_T2_PKT1_PKS2_PKS1_S9_21rocsparse_index_base_22rocsparse_matrix_type_20rocsparse_fill_mode_23rocsparse_storage_mode_P22rocsparse_data_status_
                                        ; -- End function
	.set _ZN9rocsparseL23check_matrix_csr_deviceILj256ELj64EfliEEvT3_S1_T2_PKT1_PKS2_PKS1_S9_21rocsparse_index_base_22rocsparse_matrix_type_20rocsparse_fill_mode_23rocsparse_storage_mode_P22rocsparse_data_status_.num_vgpr, 19
	.set _ZN9rocsparseL23check_matrix_csr_deviceILj256ELj64EfliEEvT3_S1_T2_PKT1_PKS2_PKS1_S9_21rocsparse_index_base_22rocsparse_matrix_type_20rocsparse_fill_mode_23rocsparse_storage_mode_P22rocsparse_data_status_.num_agpr, 0
	.set _ZN9rocsparseL23check_matrix_csr_deviceILj256ELj64EfliEEvT3_S1_T2_PKT1_PKS2_PKS1_S9_21rocsparse_index_base_22rocsparse_matrix_type_20rocsparse_fill_mode_23rocsparse_storage_mode_P22rocsparse_data_status_.numbered_sgpr, 46
	.set _ZN9rocsparseL23check_matrix_csr_deviceILj256ELj64EfliEEvT3_S1_T2_PKT1_PKS2_PKS1_S9_21rocsparse_index_base_22rocsparse_matrix_type_20rocsparse_fill_mode_23rocsparse_storage_mode_P22rocsparse_data_status_.num_named_barrier, 0
	.set _ZN9rocsparseL23check_matrix_csr_deviceILj256ELj64EfliEEvT3_S1_T2_PKT1_PKS2_PKS1_S9_21rocsparse_index_base_22rocsparse_matrix_type_20rocsparse_fill_mode_23rocsparse_storage_mode_P22rocsparse_data_status_.private_seg_size, 0
	.set _ZN9rocsparseL23check_matrix_csr_deviceILj256ELj64EfliEEvT3_S1_T2_PKT1_PKS2_PKS1_S9_21rocsparse_index_base_22rocsparse_matrix_type_20rocsparse_fill_mode_23rocsparse_storage_mode_P22rocsparse_data_status_.uses_vcc, 1
	.set _ZN9rocsparseL23check_matrix_csr_deviceILj256ELj64EfliEEvT3_S1_T2_PKT1_PKS2_PKS1_S9_21rocsparse_index_base_22rocsparse_matrix_type_20rocsparse_fill_mode_23rocsparse_storage_mode_P22rocsparse_data_status_.uses_flat_scratch, 0
	.set _ZN9rocsparseL23check_matrix_csr_deviceILj256ELj64EfliEEvT3_S1_T2_PKT1_PKS2_PKS1_S9_21rocsparse_index_base_22rocsparse_matrix_type_20rocsparse_fill_mode_23rocsparse_storage_mode_P22rocsparse_data_status_.has_dyn_sized_stack, 0
	.set _ZN9rocsparseL23check_matrix_csr_deviceILj256ELj64EfliEEvT3_S1_T2_PKT1_PKS2_PKS1_S9_21rocsparse_index_base_22rocsparse_matrix_type_20rocsparse_fill_mode_23rocsparse_storage_mode_P22rocsparse_data_status_.has_recursion, 0
	.set _ZN9rocsparseL23check_matrix_csr_deviceILj256ELj64EfliEEvT3_S1_T2_PKT1_PKS2_PKS1_S9_21rocsparse_index_base_22rocsparse_matrix_type_20rocsparse_fill_mode_23rocsparse_storage_mode_P22rocsparse_data_status_.has_indirect_call, 0
	.section	.AMDGPU.csdata,"",@progbits
; Kernel info:
; codeLenInByte = 900
; TotalNumSgprs: 50
; NumVgprs: 19
; ScratchSize: 0
; MemoryBound: 0
; FloatMode: 240
; IeeeMode: 1
; LDSByteSize: 0 bytes/workgroup (compile time only)
; SGPRBlocks: 6
; VGPRBlocks: 4
; NumSGPRsForWavesPerEU: 50
; NumVGPRsForWavesPerEU: 19
; Occupancy: 10
; WaveLimiterHint : 0
; COMPUTE_PGM_RSRC2:SCRATCH_EN: 0
; COMPUTE_PGM_RSRC2:USER_SGPR: 6
; COMPUTE_PGM_RSRC2:TRAP_HANDLER: 0
; COMPUTE_PGM_RSRC2:TGID_X_EN: 1
; COMPUTE_PGM_RSRC2:TGID_Y_EN: 0
; COMPUTE_PGM_RSRC2:TGID_Z_EN: 0
; COMPUTE_PGM_RSRC2:TIDIG_COMP_CNT: 0
	.section	.text._ZN9rocsparseL23check_matrix_csr_deviceILj256ELj128EfliEEvT3_S1_T2_PKT1_PKS2_PKS1_S9_21rocsparse_index_base_22rocsparse_matrix_type_20rocsparse_fill_mode_23rocsparse_storage_mode_P22rocsparse_data_status_,"axG",@progbits,_ZN9rocsparseL23check_matrix_csr_deviceILj256ELj128EfliEEvT3_S1_T2_PKT1_PKS2_PKS1_S9_21rocsparse_index_base_22rocsparse_matrix_type_20rocsparse_fill_mode_23rocsparse_storage_mode_P22rocsparse_data_status_,comdat
	.globl	_ZN9rocsparseL23check_matrix_csr_deviceILj256ELj128EfliEEvT3_S1_T2_PKT1_PKS2_PKS1_S9_21rocsparse_index_base_22rocsparse_matrix_type_20rocsparse_fill_mode_23rocsparse_storage_mode_P22rocsparse_data_status_ ; -- Begin function _ZN9rocsparseL23check_matrix_csr_deviceILj256ELj128EfliEEvT3_S1_T2_PKT1_PKS2_PKS1_S9_21rocsparse_index_base_22rocsparse_matrix_type_20rocsparse_fill_mode_23rocsparse_storage_mode_P22rocsparse_data_status_
	.p2align	8
	.type	_ZN9rocsparseL23check_matrix_csr_deviceILj256ELj128EfliEEvT3_S1_T2_PKT1_PKS2_PKS1_S9_21rocsparse_index_base_22rocsparse_matrix_type_20rocsparse_fill_mode_23rocsparse_storage_mode_P22rocsparse_data_status_,@function
_ZN9rocsparseL23check_matrix_csr_deviceILj256ELj128EfliEEvT3_S1_T2_PKT1_PKS2_PKS1_S9_21rocsparse_index_base_22rocsparse_matrix_type_20rocsparse_fill_mode_23rocsparse_storage_mode_P22rocsparse_data_status_: ; @_ZN9rocsparseL23check_matrix_csr_deviceILj256ELj128EfliEEvT3_S1_T2_PKT1_PKS2_PKS1_S9_21rocsparse_index_base_22rocsparse_matrix_type_20rocsparse_fill_mode_23rocsparse_storage_mode_P22rocsparse_data_status_
; %bb.0:
	s_load_dwordx2 s[16:17], s[4:5], 0x0
	v_lshl_or_b32 v1, s6, 8, v0
	v_lshrrev_b32_e32 v13, 7, v1
	s_waitcnt lgkmcnt(0)
	v_cmp_gt_i32_e32 vcc, s16, v13
	s_and_saveexec_b64 s[0:1], vcc
	s_cbranch_execz .LBB37_31
; %bb.1:
	s_load_dwordx2 s[0:1], s[4:5], 0x18
	v_lshlrev_b32_e32 v1, 3, v13
	v_mov_b32_e32 v14, 3
	s_mov_b64 s[10:11], -1
	s_mov_b64 s[8:9], 0
	s_waitcnt lgkmcnt(0)
	global_load_dwordx4 v[5:8], v1, s[0:1]
	s_load_dwordx2 s[0:1], s[0:1], 0x0
	s_waitcnt lgkmcnt(0)
	v_mov_b32_e32 v4, s1
	s_waitcnt vmcnt(0)
	v_subrev_co_u32_e32 v1, vcc, s0, v5
	v_subb_co_u32_e32 v2, vcc, v6, v4, vcc
	v_subrev_co_u32_e32 v3, vcc, s0, v7
	v_subb_co_u32_e32 v4, vcc, v8, v4, vcc
	v_cmp_gt_i64_e64 s[0:1], 0, v[3:4]
	v_cmp_lt_i64_e64 s[2:3], v[7:8], v[5:6]
	v_cmp_lt_i64_e32 vcc, -1, v[1:2]
	s_or_b64 s[0:1], s[0:1], s[2:3]
	s_xor_b64 s[0:1], s[0:1], -1
	s_and_b64 s[0:1], vcc, s[0:1]
	s_and_saveexec_b64 s[6:7], s[0:1]
	s_cbranch_execz .LBB37_29
; %bb.2:
	v_and_b32_e32 v0, 0x7f, v0
	v_add_co_u32_e32 v5, vcc, v1, v0
	v_addc_co_u32_e32 v6, vcc, 0, v2, vcc
	v_cmp_lt_u64_e32 vcc, v[5:6], v[3:4]
	v_mov_b32_e32 v14, 3
	s_and_saveexec_b64 s[18:19], vcc
	s_cbranch_execz .LBB37_28
; %bb.3:
	s_load_dwordx8 s[8:15], s[4:5], 0x20
	s_load_dwordx2 s[0:1], s[4:5], 0x10
	v_lshlrev_b64 v[11:12], 2, v[5:6]
                                        ; implicit-def: $sgpr24_sgpr25
                                        ; implicit-def: $sgpr26_sgpr27
	s_waitcnt lgkmcnt(0)
	v_mov_b32_e32 v0, s11
	v_add_co_u32_e32 v7, vcc, s10, v11
	v_addc_co_u32_e32 v0, vcc, v0, v12, vcc
	v_add_co_u32_e32 v7, vcc, -4, v7
	v_addc_co_u32_e32 v8, vcc, -1, v0, vcc
	s_cmp_lg_u32 s13, 0
	v_mov_b32_e32 v0, s1
	v_add_co_u32_e32 v9, vcc, s0, v11
	s_cselect_b64 s[20:21], -1, 0
	s_cmp_lg_u32 s14, 0
	v_addc_co_u32_e32 v10, vcc, v0, v12, vcc
	s_cselect_b64 s[22:23], -1, 0
	s_cmp_lg_u32 s15, 0
	v_mov_b32_e32 v0, s9
	v_add_co_u32_e32 v11, vcc, s8, v11
	s_cselect_b64 s[14:15], -1, 0
	v_addc_co_u32_e32 v12, vcc, v0, v12, vcc
	s_mov_b64 s[8:9], 0
	s_mov_b32 s13, 0x7f800000
                                        ; implicit-def: $sgpr10_sgpr11
	s_branch .LBB37_10
.LBB37_4:                               ;   in Loop: Header=BB37_10 Depth=1
	s_or_b64 exec, exec, s[0:1]
	s_orn2_b64 s[42:43], s[2:3], exec
	s_orn2_b64 s[0:1], s[38:39], exec
.LBB37_5:                               ;   in Loop: Header=BB37_10 Depth=1
	s_or_b64 exec, exec, s[40:41]
	s_orn2_b64 s[2:3], s[42:43], exec
	s_orn2_b64 s[0:1], s[0:1], exec
.LBB37_6:                               ;   in Loop: Header=BB37_10 Depth=1
	s_or_b64 exec, exec, s[36:37]
	s_orn2_b64 s[2:3], s[2:3], exec
	s_orn2_b64 s[0:1], s[0:1], exec
.LBB37_7:                               ;   in Loop: Header=BB37_10 Depth=1
	s_or_b64 exec, exec, s[34:35]
	s_orn2_b64 s[2:3], s[2:3], exec
	s_orn2_b64 s[0:1], s[0:1], exec
.LBB37_8:                               ;   in Loop: Header=BB37_10 Depth=1
	s_or_b64 exec, exec, s[30:31]
	s_andn2_b64 s[26:27], s[26:27], exec
	s_and_b64 s[2:3], s[2:3], exec
	s_or_b64 s[26:27], s[26:27], s[2:3]
	s_andn2_b64 s[2:3], s[24:25], exec
	s_and_b64 s[0:1], s[0:1], exec
	s_or_b64 s[24:25], s[2:3], s[0:1]
.LBB37_9:                               ;   in Loop: Header=BB37_10 Depth=1
	s_or_b64 exec, exec, s[28:29]
	s_and_b64 s[0:1], exec, s[24:25]
	s_or_b64 s[8:9], s[0:1], s[8:9]
	s_andn2_b64 s[0:1], s[10:11], exec
	s_and_b64 s[2:3], s[26:27], exec
	s_or_b64 s[10:11], s[0:1], s[2:3]
	s_andn2_b64 exec, exec, s[8:9]
	s_cbranch_execz .LBB37_27
.LBB37_10:                              ; =>This Inner Loop Header: Depth=1
	global_load_dword v0, v[11:12], off
	v_mov_b32_e32 v14, 4
	s_or_b64 s[26:27], s[26:27], exec
	s_or_b64 s[24:25], s[24:25], exec
	s_waitcnt vmcnt(0)
	v_subrev_u32_e32 v15, s12, v0
	v_cmp_lt_i32_e32 vcc, -1, v15
	v_cmp_gt_i32_e64 s[0:1], s17, v15
	s_and_b64 s[0:1], vcc, s[0:1]
	s_and_saveexec_b64 s[28:29], s[0:1]
	s_cbranch_execz .LBB37_9
; %bb.11:                               ;   in Loop: Header=BB37_10 Depth=1
	v_cmp_le_i64_e64 s[38:39], v[5:6], v[1:2]
	v_cmp_gt_i64_e32 vcc, v[5:6], v[1:2]
	v_mov_b32_e32 v14, 4
	s_mov_b64 s[34:35], s[38:39]
	s_and_saveexec_b64 s[30:31], vcc
	s_cbranch_execz .LBB37_13
; %bb.12:                               ;   in Loop: Header=BB37_10 Depth=1
	global_load_dwordx2 v[16:17], v[7:8], off
	v_mov_b32_e32 v14, 5
	s_waitcnt vmcnt(0)
	v_subrev_u32_e32 v18, s12, v16
	v_cmp_lt_i32_e64 s[0:1], -1, v18
	v_cmp_gt_i32_e64 s[2:3], s17, v18
	s_and_b64 s[0:1], s[0:1], s[2:3]
	v_cmp_ne_u32_e32 vcc, v17, v16
	s_xor_b64 s[0:1], s[0:1], -1
	s_or_b64 s[0:1], vcc, s[0:1]
	s_andn2_b64 s[2:3], s[38:39], exec
	s_and_b64 s[0:1], s[0:1], exec
	s_or_b64 s[34:35], s[2:3], s[0:1]
.LBB37_13:                              ;   in Loop: Header=BB37_10 Depth=1
	s_or_b64 exec, exec, s[30:31]
	s_mov_b64 s[0:1], -1
	s_mov_b64 s[2:3], -1
	s_and_saveexec_b64 s[30:31], s[34:35]
	s_cbranch_execz .LBB37_8
; %bb.14:                               ;   in Loop: Header=BB37_10 Depth=1
	global_load_dword v16, v[9:10], off
	v_mov_b32_e32 v14, 1
	s_waitcnt vmcnt(0)
	v_cmp_neq_f32_e32 vcc, s13, v16
	s_and_saveexec_b64 s[34:35], vcc
	s_cbranch_execz .LBB37_7
; %bb.15:                               ;   in Loop: Header=BB37_10 Depth=1
	v_cmp_o_f32_e32 vcc, v16, v16
	v_mov_b32_e32 v14, 2
	s_and_saveexec_b64 s[36:37], vcc
	s_cbranch_execz .LBB37_6
; %bb.16:                               ;   in Loop: Header=BB37_10 Depth=1
	s_and_b64 vcc, exec, s[20:21]
	s_cbranch_vccz .LBB37_19
; %bb.17:                               ;   in Loop: Header=BB37_10 Depth=1
	s_and_b64 vcc, exec, s[22:23]
	s_cbranch_vccz .LBB37_20
; %bb.18:                               ;   in Loop: Header=BB37_10 Depth=1
	v_cmp_le_i32_e32 vcc, v13, v15
	s_mov_b32 s16, 7
	s_and_b64 s[2:3], vcc, exec
	s_cbranch_execz .LBB37_21
	s_branch .LBB37_22
.LBB37_19:                              ;   in Loop: Header=BB37_10 Depth=1
	s_mov_b32 s16, 2
	s_branch .LBB37_22
.LBB37_20:                              ;   in Loop: Header=BB37_10 Depth=1
	s_mov_b64 s[2:3], 0
	s_mov_b32 s16, 2
.LBB37_21:                              ;   in Loop: Header=BB37_10 Depth=1
	v_cmp_ge_i32_e32 vcc, v13, v15
	s_andn2_b64 s[2:3], s[2:3], exec
	s_and_b64 s[40:41], vcc, exec
	s_mov_b32 s16, 7
	s_or_b64 s[2:3], s[2:3], s[40:41]
.LBB37_22:                              ;   in Loop: Header=BB37_10 Depth=1
	v_mov_b32_e32 v14, s16
	s_mov_b64 s[42:43], -1
	s_and_saveexec_b64 s[40:41], s[2:3]
	s_cbranch_execz .LBB37_5
; %bb.23:                               ;   in Loop: Header=BB37_10 Depth=1
	s_nor_b64 s[0:1], s[14:15], s[38:39]
	s_mov_b64 s[38:39], -1
	v_mov_b32_e32 v14, s16
	s_and_saveexec_b64 s[44:45], s[0:1]
	s_cbranch_execz .LBB37_25
; %bb.24:                               ;   in Loop: Header=BB37_10 Depth=1
	global_load_dword v14, v[11:12], off offset:-4
	s_waitcnt vmcnt(0)
	v_subrev_u32_e32 v15, s12, v14
	v_cmp_lt_i32_e64 s[0:1], -1, v15
	v_cmp_gt_i32_e64 s[2:3], s17, v15
	s_and_b64 s[0:1], s[0:1], s[2:3]
	v_cmp_gt_i32_e32 vcc, v0, v14
	s_xor_b64 s[0:1], s[0:1], -1
	s_or_b64 s[0:1], vcc, s[0:1]
	v_mov_b32_e32 v14, 6
	s_orn2_b64 s[42:43], s[0:1], exec
.LBB37_25:                              ;   in Loop: Header=BB37_10 Depth=1
	s_or_b64 exec, exec, s[44:45]
	s_mov_b64 s[2:3], -1
	s_and_saveexec_b64 s[0:1], s[42:43]
	s_cbranch_execz .LBB37_4
; %bb.26:                               ;   in Loop: Header=BB37_10 Depth=1
	v_add_co_u32_e32 v5, vcc, 0x80, v5
	v_addc_co_u32_e32 v6, vcc, 0, v6, vcc
	v_add_co_u32_e32 v7, vcc, 0x200, v7
	v_addc_co_u32_e32 v8, vcc, 0, v8, vcc
	;; [unrolled: 2-line block ×4, first 2 shown]
	v_cmp_ge_i64_e32 vcc, v[5:6], v[3:4]
	s_xor_b64 s[2:3], exec, -1
	s_orn2_b64 s[38:39], vcc, exec
	s_branch .LBB37_4
.LBB37_27:
	s_or_b64 exec, exec, s[8:9]
	s_and_b64 s[8:9], s[10:11], exec
.LBB37_28:
	s_or_b64 exec, exec, s[18:19]
	s_orn2_b64 s[10:11], s[8:9], exec
.LBB37_29:
	s_or_b64 exec, exec, s[6:7]
	s_and_b64 exec, exec, s[10:11]
	s_cbranch_execz .LBB37_31
; %bb.30:
	s_load_dwordx2 s[0:1], s[4:5], 0x40
	v_mov_b32_e32 v0, 0
	s_waitcnt lgkmcnt(0)
	global_store_dword v0, v14, s[0:1]
.LBB37_31:
	s_endpgm
	.section	.rodata,"a",@progbits
	.p2align	6, 0x0
	.amdhsa_kernel _ZN9rocsparseL23check_matrix_csr_deviceILj256ELj128EfliEEvT3_S1_T2_PKT1_PKS2_PKS1_S9_21rocsparse_index_base_22rocsparse_matrix_type_20rocsparse_fill_mode_23rocsparse_storage_mode_P22rocsparse_data_status_
		.amdhsa_group_segment_fixed_size 0
		.amdhsa_private_segment_fixed_size 0
		.amdhsa_kernarg_size 72
		.amdhsa_user_sgpr_count 6
		.amdhsa_user_sgpr_private_segment_buffer 1
		.amdhsa_user_sgpr_dispatch_ptr 0
		.amdhsa_user_sgpr_queue_ptr 0
		.amdhsa_user_sgpr_kernarg_segment_ptr 1
		.amdhsa_user_sgpr_dispatch_id 0
		.amdhsa_user_sgpr_flat_scratch_init 0
		.amdhsa_user_sgpr_private_segment_size 0
		.amdhsa_uses_dynamic_stack 0
		.amdhsa_system_sgpr_private_segment_wavefront_offset 0
		.amdhsa_system_sgpr_workgroup_id_x 1
		.amdhsa_system_sgpr_workgroup_id_y 0
		.amdhsa_system_sgpr_workgroup_id_z 0
		.amdhsa_system_sgpr_workgroup_info 0
		.amdhsa_system_vgpr_workitem_id 0
		.amdhsa_next_free_vgpr 19
		.amdhsa_next_free_sgpr 46
		.amdhsa_reserve_vcc 1
		.amdhsa_reserve_flat_scratch 0
		.amdhsa_float_round_mode_32 0
		.amdhsa_float_round_mode_16_64 0
		.amdhsa_float_denorm_mode_32 3
		.amdhsa_float_denorm_mode_16_64 3
		.amdhsa_dx10_clamp 1
		.amdhsa_ieee_mode 1
		.amdhsa_fp16_overflow 0
		.amdhsa_exception_fp_ieee_invalid_op 0
		.amdhsa_exception_fp_denorm_src 0
		.amdhsa_exception_fp_ieee_div_zero 0
		.amdhsa_exception_fp_ieee_overflow 0
		.amdhsa_exception_fp_ieee_underflow 0
		.amdhsa_exception_fp_ieee_inexact 0
		.amdhsa_exception_int_div_zero 0
	.end_amdhsa_kernel
	.section	.text._ZN9rocsparseL23check_matrix_csr_deviceILj256ELj128EfliEEvT3_S1_T2_PKT1_PKS2_PKS1_S9_21rocsparse_index_base_22rocsparse_matrix_type_20rocsparse_fill_mode_23rocsparse_storage_mode_P22rocsparse_data_status_,"axG",@progbits,_ZN9rocsparseL23check_matrix_csr_deviceILj256ELj128EfliEEvT3_S1_T2_PKT1_PKS2_PKS1_S9_21rocsparse_index_base_22rocsparse_matrix_type_20rocsparse_fill_mode_23rocsparse_storage_mode_P22rocsparse_data_status_,comdat
.Lfunc_end37:
	.size	_ZN9rocsparseL23check_matrix_csr_deviceILj256ELj128EfliEEvT3_S1_T2_PKT1_PKS2_PKS1_S9_21rocsparse_index_base_22rocsparse_matrix_type_20rocsparse_fill_mode_23rocsparse_storage_mode_P22rocsparse_data_status_, .Lfunc_end37-_ZN9rocsparseL23check_matrix_csr_deviceILj256ELj128EfliEEvT3_S1_T2_PKT1_PKS2_PKS1_S9_21rocsparse_index_base_22rocsparse_matrix_type_20rocsparse_fill_mode_23rocsparse_storage_mode_P22rocsparse_data_status_
                                        ; -- End function
	.set _ZN9rocsparseL23check_matrix_csr_deviceILj256ELj128EfliEEvT3_S1_T2_PKT1_PKS2_PKS1_S9_21rocsparse_index_base_22rocsparse_matrix_type_20rocsparse_fill_mode_23rocsparse_storage_mode_P22rocsparse_data_status_.num_vgpr, 19
	.set _ZN9rocsparseL23check_matrix_csr_deviceILj256ELj128EfliEEvT3_S1_T2_PKT1_PKS2_PKS1_S9_21rocsparse_index_base_22rocsparse_matrix_type_20rocsparse_fill_mode_23rocsparse_storage_mode_P22rocsparse_data_status_.num_agpr, 0
	.set _ZN9rocsparseL23check_matrix_csr_deviceILj256ELj128EfliEEvT3_S1_T2_PKT1_PKS2_PKS1_S9_21rocsparse_index_base_22rocsparse_matrix_type_20rocsparse_fill_mode_23rocsparse_storage_mode_P22rocsparse_data_status_.numbered_sgpr, 46
	.set _ZN9rocsparseL23check_matrix_csr_deviceILj256ELj128EfliEEvT3_S1_T2_PKT1_PKS2_PKS1_S9_21rocsparse_index_base_22rocsparse_matrix_type_20rocsparse_fill_mode_23rocsparse_storage_mode_P22rocsparse_data_status_.num_named_barrier, 0
	.set _ZN9rocsparseL23check_matrix_csr_deviceILj256ELj128EfliEEvT3_S1_T2_PKT1_PKS2_PKS1_S9_21rocsparse_index_base_22rocsparse_matrix_type_20rocsparse_fill_mode_23rocsparse_storage_mode_P22rocsparse_data_status_.private_seg_size, 0
	.set _ZN9rocsparseL23check_matrix_csr_deviceILj256ELj128EfliEEvT3_S1_T2_PKT1_PKS2_PKS1_S9_21rocsparse_index_base_22rocsparse_matrix_type_20rocsparse_fill_mode_23rocsparse_storage_mode_P22rocsparse_data_status_.uses_vcc, 1
	.set _ZN9rocsparseL23check_matrix_csr_deviceILj256ELj128EfliEEvT3_S1_T2_PKT1_PKS2_PKS1_S9_21rocsparse_index_base_22rocsparse_matrix_type_20rocsparse_fill_mode_23rocsparse_storage_mode_P22rocsparse_data_status_.uses_flat_scratch, 0
	.set _ZN9rocsparseL23check_matrix_csr_deviceILj256ELj128EfliEEvT3_S1_T2_PKT1_PKS2_PKS1_S9_21rocsparse_index_base_22rocsparse_matrix_type_20rocsparse_fill_mode_23rocsparse_storage_mode_P22rocsparse_data_status_.has_dyn_sized_stack, 0
	.set _ZN9rocsparseL23check_matrix_csr_deviceILj256ELj128EfliEEvT3_S1_T2_PKT1_PKS2_PKS1_S9_21rocsparse_index_base_22rocsparse_matrix_type_20rocsparse_fill_mode_23rocsparse_storage_mode_P22rocsparse_data_status_.has_recursion, 0
	.set _ZN9rocsparseL23check_matrix_csr_deviceILj256ELj128EfliEEvT3_S1_T2_PKT1_PKS2_PKS1_S9_21rocsparse_index_base_22rocsparse_matrix_type_20rocsparse_fill_mode_23rocsparse_storage_mode_P22rocsparse_data_status_.has_indirect_call, 0
	.section	.AMDGPU.csdata,"",@progbits
; Kernel info:
; codeLenInByte = 908
; TotalNumSgprs: 50
; NumVgprs: 19
; ScratchSize: 0
; MemoryBound: 0
; FloatMode: 240
; IeeeMode: 1
; LDSByteSize: 0 bytes/workgroup (compile time only)
; SGPRBlocks: 6
; VGPRBlocks: 4
; NumSGPRsForWavesPerEU: 50
; NumVGPRsForWavesPerEU: 19
; Occupancy: 10
; WaveLimiterHint : 0
; COMPUTE_PGM_RSRC2:SCRATCH_EN: 0
; COMPUTE_PGM_RSRC2:USER_SGPR: 6
; COMPUTE_PGM_RSRC2:TRAP_HANDLER: 0
; COMPUTE_PGM_RSRC2:TGID_X_EN: 1
; COMPUTE_PGM_RSRC2:TGID_Y_EN: 0
; COMPUTE_PGM_RSRC2:TGID_Z_EN: 0
; COMPUTE_PGM_RSRC2:TIDIG_COMP_CNT: 0
	.section	.text._ZN9rocsparseL23check_matrix_csr_deviceILj256ELj256EfliEEvT3_S1_T2_PKT1_PKS2_PKS1_S9_21rocsparse_index_base_22rocsparse_matrix_type_20rocsparse_fill_mode_23rocsparse_storage_mode_P22rocsparse_data_status_,"axG",@progbits,_ZN9rocsparseL23check_matrix_csr_deviceILj256ELj256EfliEEvT3_S1_T2_PKT1_PKS2_PKS1_S9_21rocsparse_index_base_22rocsparse_matrix_type_20rocsparse_fill_mode_23rocsparse_storage_mode_P22rocsparse_data_status_,comdat
	.globl	_ZN9rocsparseL23check_matrix_csr_deviceILj256ELj256EfliEEvT3_S1_T2_PKT1_PKS2_PKS1_S9_21rocsparse_index_base_22rocsparse_matrix_type_20rocsparse_fill_mode_23rocsparse_storage_mode_P22rocsparse_data_status_ ; -- Begin function _ZN9rocsparseL23check_matrix_csr_deviceILj256ELj256EfliEEvT3_S1_T2_PKT1_PKS2_PKS1_S9_21rocsparse_index_base_22rocsparse_matrix_type_20rocsparse_fill_mode_23rocsparse_storage_mode_P22rocsparse_data_status_
	.p2align	8
	.type	_ZN9rocsparseL23check_matrix_csr_deviceILj256ELj256EfliEEvT3_S1_T2_PKT1_PKS2_PKS1_S9_21rocsparse_index_base_22rocsparse_matrix_type_20rocsparse_fill_mode_23rocsparse_storage_mode_P22rocsparse_data_status_,@function
_ZN9rocsparseL23check_matrix_csr_deviceILj256ELj256EfliEEvT3_S1_T2_PKT1_PKS2_PKS1_S9_21rocsparse_index_base_22rocsparse_matrix_type_20rocsparse_fill_mode_23rocsparse_storage_mode_P22rocsparse_data_status_: ; @_ZN9rocsparseL23check_matrix_csr_deviceILj256ELj256EfliEEvT3_S1_T2_PKT1_PKS2_PKS1_S9_21rocsparse_index_base_22rocsparse_matrix_type_20rocsparse_fill_mode_23rocsparse_storage_mode_P22rocsparse_data_status_
; %bb.0:
	s_load_dwordx2 s[16:17], s[4:5], 0x0
	s_and_b32 s33, s6, 0xffffff
	s_waitcnt lgkmcnt(0)
	s_cmp_lt_i32 s33, s16
	s_cselect_b64 s[0:1], -1, 0
	s_and_saveexec_b64 s[2:3], s[0:1]
	s_cbranch_execz .LBB38_31
; %bb.1:
	s_load_dwordx2 s[0:1], s[4:5], 0x18
	v_lshlrev_b32_e64 v1, 3, s33
	v_mov_b32_e32 v13, 3
	s_mov_b64 s[10:11], -1
	s_mov_b64 s[8:9], 0
	s_waitcnt lgkmcnt(0)
	global_load_dwordx4 v[5:8], v1, s[0:1]
	s_load_dwordx2 s[0:1], s[0:1], 0x0
	s_waitcnt lgkmcnt(0)
	v_mov_b32_e32 v4, s1
	s_waitcnt vmcnt(0)
	v_subrev_co_u32_e32 v1, vcc, s0, v5
	v_subb_co_u32_e32 v2, vcc, v6, v4, vcc
	v_subrev_co_u32_e32 v3, vcc, s0, v7
	v_subb_co_u32_e32 v4, vcc, v8, v4, vcc
	v_cmp_gt_i64_e64 s[0:1], 0, v[3:4]
	v_cmp_lt_i64_e64 s[2:3], v[7:8], v[5:6]
	v_cmp_lt_i64_e32 vcc, -1, v[1:2]
	s_or_b64 s[0:1], s[0:1], s[2:3]
	s_xor_b64 s[0:1], s[0:1], -1
	s_and_b64 s[0:1], vcc, s[0:1]
	s_and_saveexec_b64 s[6:7], s[0:1]
	s_cbranch_execz .LBB38_29
; %bb.2:
	v_add_co_u32_e32 v5, vcc, v1, v0
	v_addc_co_u32_e32 v6, vcc, 0, v2, vcc
	v_cmp_lt_u64_e32 vcc, v[5:6], v[3:4]
	v_mov_b32_e32 v13, 3
	s_and_saveexec_b64 s[18:19], vcc
	s_cbranch_execz .LBB38_28
; %bb.3:
	s_load_dwordx8 s[8:15], s[4:5], 0x20
	s_load_dwordx2 s[0:1], s[4:5], 0x10
	v_lshlrev_b64 v[11:12], 2, v[5:6]
                                        ; implicit-def: $sgpr24_sgpr25
                                        ; implicit-def: $sgpr26_sgpr27
	s_waitcnt lgkmcnt(0)
	v_mov_b32_e32 v0, s11
	v_add_co_u32_e32 v7, vcc, s10, v11
	v_addc_co_u32_e32 v0, vcc, v0, v12, vcc
	v_add_co_u32_e32 v7, vcc, -4, v7
	v_addc_co_u32_e32 v8, vcc, -1, v0, vcc
	s_cmp_lg_u32 s13, 0
	v_mov_b32_e32 v0, s1
	v_add_co_u32_e32 v9, vcc, s0, v11
	s_cselect_b64 s[20:21], -1, 0
	s_cmp_lg_u32 s14, 0
	v_addc_co_u32_e32 v10, vcc, v0, v12, vcc
	s_cselect_b64 s[22:23], -1, 0
	s_cmp_lg_u32 s15, 0
	v_mov_b32_e32 v0, s9
	v_add_co_u32_e32 v11, vcc, s8, v11
	s_cselect_b64 s[14:15], -1, 0
	v_addc_co_u32_e32 v12, vcc, v0, v12, vcc
	s_mov_b64 s[8:9], 0
	s_mov_b32 s13, 0x7f800000
                                        ; implicit-def: $sgpr10_sgpr11
	s_branch .LBB38_10
.LBB38_4:                               ;   in Loop: Header=BB38_10 Depth=1
	s_or_b64 exec, exec, s[0:1]
	s_orn2_b64 s[42:43], s[2:3], exec
	s_orn2_b64 s[0:1], s[38:39], exec
.LBB38_5:                               ;   in Loop: Header=BB38_10 Depth=1
	s_or_b64 exec, exec, s[40:41]
	s_orn2_b64 s[2:3], s[42:43], exec
	s_orn2_b64 s[0:1], s[0:1], exec
.LBB38_6:                               ;   in Loop: Header=BB38_10 Depth=1
	s_or_b64 exec, exec, s[36:37]
	s_orn2_b64 s[2:3], s[2:3], exec
	s_orn2_b64 s[0:1], s[0:1], exec
.LBB38_7:                               ;   in Loop: Header=BB38_10 Depth=1
	s_or_b64 exec, exec, s[34:35]
	s_orn2_b64 s[2:3], s[2:3], exec
	s_orn2_b64 s[0:1], s[0:1], exec
.LBB38_8:                               ;   in Loop: Header=BB38_10 Depth=1
	s_or_b64 exec, exec, s[30:31]
	s_andn2_b64 s[26:27], s[26:27], exec
	s_and_b64 s[2:3], s[2:3], exec
	s_or_b64 s[26:27], s[26:27], s[2:3]
	s_andn2_b64 s[2:3], s[24:25], exec
	s_and_b64 s[0:1], s[0:1], exec
	s_or_b64 s[24:25], s[2:3], s[0:1]
.LBB38_9:                               ;   in Loop: Header=BB38_10 Depth=1
	s_or_b64 exec, exec, s[28:29]
	s_and_b64 s[0:1], exec, s[24:25]
	s_or_b64 s[8:9], s[0:1], s[8:9]
	s_andn2_b64 s[0:1], s[10:11], exec
	s_and_b64 s[2:3], s[26:27], exec
	s_or_b64 s[10:11], s[0:1], s[2:3]
	s_andn2_b64 exec, exec, s[8:9]
	s_cbranch_execz .LBB38_27
.LBB38_10:                              ; =>This Inner Loop Header: Depth=1
	global_load_dword v0, v[11:12], off
	v_mov_b32_e32 v13, 4
	s_or_b64 s[26:27], s[26:27], exec
	s_or_b64 s[24:25], s[24:25], exec
	s_waitcnt vmcnt(0)
	v_subrev_u32_e32 v14, s12, v0
	v_cmp_lt_i32_e32 vcc, -1, v14
	v_cmp_gt_i32_e64 s[0:1], s17, v14
	s_and_b64 s[0:1], vcc, s[0:1]
	s_and_saveexec_b64 s[28:29], s[0:1]
	s_cbranch_execz .LBB38_9
; %bb.11:                               ;   in Loop: Header=BB38_10 Depth=1
	v_cmp_le_i64_e64 s[38:39], v[5:6], v[1:2]
	v_cmp_gt_i64_e32 vcc, v[5:6], v[1:2]
	v_mov_b32_e32 v13, 4
	s_mov_b64 s[34:35], s[38:39]
	s_and_saveexec_b64 s[30:31], vcc
	s_cbranch_execz .LBB38_13
; %bb.12:                               ;   in Loop: Header=BB38_10 Depth=1
	global_load_dwordx2 v[15:16], v[7:8], off
	v_mov_b32_e32 v13, 5
	s_waitcnt vmcnt(0)
	v_subrev_u32_e32 v17, s12, v15
	v_cmp_lt_i32_e64 s[0:1], -1, v17
	v_cmp_gt_i32_e64 s[2:3], s17, v17
	s_and_b64 s[0:1], s[0:1], s[2:3]
	v_cmp_ne_u32_e32 vcc, v16, v15
	s_xor_b64 s[0:1], s[0:1], -1
	s_or_b64 s[0:1], vcc, s[0:1]
	s_andn2_b64 s[2:3], s[38:39], exec
	s_and_b64 s[0:1], s[0:1], exec
	s_or_b64 s[34:35], s[2:3], s[0:1]
.LBB38_13:                              ;   in Loop: Header=BB38_10 Depth=1
	s_or_b64 exec, exec, s[30:31]
	s_mov_b64 s[0:1], -1
	s_mov_b64 s[2:3], -1
	s_and_saveexec_b64 s[30:31], s[34:35]
	s_cbranch_execz .LBB38_8
; %bb.14:                               ;   in Loop: Header=BB38_10 Depth=1
	global_load_dword v15, v[9:10], off
	v_mov_b32_e32 v13, 1
	s_waitcnt vmcnt(0)
	v_cmp_neq_f32_e32 vcc, s13, v15
	s_and_saveexec_b64 s[34:35], vcc
	s_cbranch_execz .LBB38_7
; %bb.15:                               ;   in Loop: Header=BB38_10 Depth=1
	v_cmp_o_f32_e32 vcc, v15, v15
	v_mov_b32_e32 v13, 2
	s_and_saveexec_b64 s[36:37], vcc
	s_cbranch_execz .LBB38_6
; %bb.16:                               ;   in Loop: Header=BB38_10 Depth=1
	s_and_b64 vcc, exec, s[20:21]
	s_cbranch_vccz .LBB38_19
; %bb.17:                               ;   in Loop: Header=BB38_10 Depth=1
	s_and_b64 vcc, exec, s[22:23]
	s_cbranch_vccz .LBB38_20
; %bb.18:                               ;   in Loop: Header=BB38_10 Depth=1
	v_cmp_le_i32_e32 vcc, s33, v14
	s_mov_b32 s16, 7
	s_and_b64 s[2:3], vcc, exec
	s_cbranch_execz .LBB38_21
	s_branch .LBB38_22
.LBB38_19:                              ;   in Loop: Header=BB38_10 Depth=1
	s_mov_b32 s16, 2
	s_branch .LBB38_22
.LBB38_20:                              ;   in Loop: Header=BB38_10 Depth=1
	s_mov_b64 s[2:3], 0
	s_mov_b32 s16, 2
.LBB38_21:                              ;   in Loop: Header=BB38_10 Depth=1
	v_cmp_ge_i32_e32 vcc, s33, v14
	s_andn2_b64 s[2:3], s[2:3], exec
	s_and_b64 s[40:41], vcc, exec
	s_mov_b32 s16, 7
	s_or_b64 s[2:3], s[2:3], s[40:41]
.LBB38_22:                              ;   in Loop: Header=BB38_10 Depth=1
	v_mov_b32_e32 v13, s16
	s_mov_b64 s[42:43], -1
	s_and_saveexec_b64 s[40:41], s[2:3]
	s_cbranch_execz .LBB38_5
; %bb.23:                               ;   in Loop: Header=BB38_10 Depth=1
	s_nor_b64 s[0:1], s[14:15], s[38:39]
	s_mov_b64 s[38:39], -1
	v_mov_b32_e32 v13, s16
	s_and_saveexec_b64 s[44:45], s[0:1]
	s_cbranch_execz .LBB38_25
; %bb.24:                               ;   in Loop: Header=BB38_10 Depth=1
	global_load_dword v13, v[11:12], off offset:-4
	s_waitcnt vmcnt(0)
	v_subrev_u32_e32 v14, s12, v13
	v_cmp_lt_i32_e64 s[0:1], -1, v14
	v_cmp_gt_i32_e64 s[2:3], s17, v14
	s_and_b64 s[0:1], s[0:1], s[2:3]
	v_cmp_gt_i32_e32 vcc, v0, v13
	s_xor_b64 s[0:1], s[0:1], -1
	s_or_b64 s[0:1], vcc, s[0:1]
	v_mov_b32_e32 v13, 6
	s_orn2_b64 s[42:43], s[0:1], exec
.LBB38_25:                              ;   in Loop: Header=BB38_10 Depth=1
	s_or_b64 exec, exec, s[44:45]
	s_mov_b64 s[2:3], -1
	s_and_saveexec_b64 s[0:1], s[42:43]
	s_cbranch_execz .LBB38_4
; %bb.26:                               ;   in Loop: Header=BB38_10 Depth=1
	v_add_co_u32_e32 v5, vcc, 0x100, v5
	v_addc_co_u32_e32 v6, vcc, 0, v6, vcc
	v_add_co_u32_e32 v7, vcc, 0x400, v7
	v_addc_co_u32_e32 v8, vcc, 0, v8, vcc
	;; [unrolled: 2-line block ×4, first 2 shown]
	v_cmp_ge_i64_e32 vcc, v[5:6], v[3:4]
	s_xor_b64 s[2:3], exec, -1
	s_orn2_b64 s[38:39], vcc, exec
	s_branch .LBB38_4
.LBB38_27:
	s_or_b64 exec, exec, s[8:9]
	s_and_b64 s[8:9], s[10:11], exec
.LBB38_28:
	s_or_b64 exec, exec, s[18:19]
	s_orn2_b64 s[10:11], s[8:9], exec
.LBB38_29:
	s_or_b64 exec, exec, s[6:7]
	s_and_b64 exec, exec, s[10:11]
	s_cbranch_execz .LBB38_31
; %bb.30:
	s_load_dwordx2 s[0:1], s[4:5], 0x40
	v_mov_b32_e32 v0, 0
	s_waitcnt lgkmcnt(0)
	global_store_dword v0, v13, s[0:1]
.LBB38_31:
	s_endpgm
	.section	.rodata,"a",@progbits
	.p2align	6, 0x0
	.amdhsa_kernel _ZN9rocsparseL23check_matrix_csr_deviceILj256ELj256EfliEEvT3_S1_T2_PKT1_PKS2_PKS1_S9_21rocsparse_index_base_22rocsparse_matrix_type_20rocsparse_fill_mode_23rocsparse_storage_mode_P22rocsparse_data_status_
		.amdhsa_group_segment_fixed_size 0
		.amdhsa_private_segment_fixed_size 0
		.amdhsa_kernarg_size 72
		.amdhsa_user_sgpr_count 6
		.amdhsa_user_sgpr_private_segment_buffer 1
		.amdhsa_user_sgpr_dispatch_ptr 0
		.amdhsa_user_sgpr_queue_ptr 0
		.amdhsa_user_sgpr_kernarg_segment_ptr 1
		.amdhsa_user_sgpr_dispatch_id 0
		.amdhsa_user_sgpr_flat_scratch_init 0
		.amdhsa_user_sgpr_private_segment_size 0
		.amdhsa_uses_dynamic_stack 0
		.amdhsa_system_sgpr_private_segment_wavefront_offset 0
		.amdhsa_system_sgpr_workgroup_id_x 1
		.amdhsa_system_sgpr_workgroup_id_y 0
		.amdhsa_system_sgpr_workgroup_id_z 0
		.amdhsa_system_sgpr_workgroup_info 0
		.amdhsa_system_vgpr_workitem_id 0
		.amdhsa_next_free_vgpr 18
		.amdhsa_next_free_sgpr 46
		.amdhsa_reserve_vcc 1
		.amdhsa_reserve_flat_scratch 0
		.amdhsa_float_round_mode_32 0
		.amdhsa_float_round_mode_16_64 0
		.amdhsa_float_denorm_mode_32 3
		.amdhsa_float_denorm_mode_16_64 3
		.amdhsa_dx10_clamp 1
		.amdhsa_ieee_mode 1
		.amdhsa_fp16_overflow 0
		.amdhsa_exception_fp_ieee_invalid_op 0
		.amdhsa_exception_fp_denorm_src 0
		.amdhsa_exception_fp_ieee_div_zero 0
		.amdhsa_exception_fp_ieee_overflow 0
		.amdhsa_exception_fp_ieee_underflow 0
		.amdhsa_exception_fp_ieee_inexact 0
		.amdhsa_exception_int_div_zero 0
	.end_amdhsa_kernel
	.section	.text._ZN9rocsparseL23check_matrix_csr_deviceILj256ELj256EfliEEvT3_S1_T2_PKT1_PKS2_PKS1_S9_21rocsparse_index_base_22rocsparse_matrix_type_20rocsparse_fill_mode_23rocsparse_storage_mode_P22rocsparse_data_status_,"axG",@progbits,_ZN9rocsparseL23check_matrix_csr_deviceILj256ELj256EfliEEvT3_S1_T2_PKT1_PKS2_PKS1_S9_21rocsparse_index_base_22rocsparse_matrix_type_20rocsparse_fill_mode_23rocsparse_storage_mode_P22rocsparse_data_status_,comdat
.Lfunc_end38:
	.size	_ZN9rocsparseL23check_matrix_csr_deviceILj256ELj256EfliEEvT3_S1_T2_PKT1_PKS2_PKS1_S9_21rocsparse_index_base_22rocsparse_matrix_type_20rocsparse_fill_mode_23rocsparse_storage_mode_P22rocsparse_data_status_, .Lfunc_end38-_ZN9rocsparseL23check_matrix_csr_deviceILj256ELj256EfliEEvT3_S1_T2_PKT1_PKS2_PKS1_S9_21rocsparse_index_base_22rocsparse_matrix_type_20rocsparse_fill_mode_23rocsparse_storage_mode_P22rocsparse_data_status_
                                        ; -- End function
	.set _ZN9rocsparseL23check_matrix_csr_deviceILj256ELj256EfliEEvT3_S1_T2_PKT1_PKS2_PKS1_S9_21rocsparse_index_base_22rocsparse_matrix_type_20rocsparse_fill_mode_23rocsparse_storage_mode_P22rocsparse_data_status_.num_vgpr, 18
	.set _ZN9rocsparseL23check_matrix_csr_deviceILj256ELj256EfliEEvT3_S1_T2_PKT1_PKS2_PKS1_S9_21rocsparse_index_base_22rocsparse_matrix_type_20rocsparse_fill_mode_23rocsparse_storage_mode_P22rocsparse_data_status_.num_agpr, 0
	.set _ZN9rocsparseL23check_matrix_csr_deviceILj256ELj256EfliEEvT3_S1_T2_PKT1_PKS2_PKS1_S9_21rocsparse_index_base_22rocsparse_matrix_type_20rocsparse_fill_mode_23rocsparse_storage_mode_P22rocsparse_data_status_.numbered_sgpr, 46
	.set _ZN9rocsparseL23check_matrix_csr_deviceILj256ELj256EfliEEvT3_S1_T2_PKT1_PKS2_PKS1_S9_21rocsparse_index_base_22rocsparse_matrix_type_20rocsparse_fill_mode_23rocsparse_storage_mode_P22rocsparse_data_status_.num_named_barrier, 0
	.set _ZN9rocsparseL23check_matrix_csr_deviceILj256ELj256EfliEEvT3_S1_T2_PKT1_PKS2_PKS1_S9_21rocsparse_index_base_22rocsparse_matrix_type_20rocsparse_fill_mode_23rocsparse_storage_mode_P22rocsparse_data_status_.private_seg_size, 0
	.set _ZN9rocsparseL23check_matrix_csr_deviceILj256ELj256EfliEEvT3_S1_T2_PKT1_PKS2_PKS1_S9_21rocsparse_index_base_22rocsparse_matrix_type_20rocsparse_fill_mode_23rocsparse_storage_mode_P22rocsparse_data_status_.uses_vcc, 1
	.set _ZN9rocsparseL23check_matrix_csr_deviceILj256ELj256EfliEEvT3_S1_T2_PKT1_PKS2_PKS1_S9_21rocsparse_index_base_22rocsparse_matrix_type_20rocsparse_fill_mode_23rocsparse_storage_mode_P22rocsparse_data_status_.uses_flat_scratch, 0
	.set _ZN9rocsparseL23check_matrix_csr_deviceILj256ELj256EfliEEvT3_S1_T2_PKT1_PKS2_PKS1_S9_21rocsparse_index_base_22rocsparse_matrix_type_20rocsparse_fill_mode_23rocsparse_storage_mode_P22rocsparse_data_status_.has_dyn_sized_stack, 0
	.set _ZN9rocsparseL23check_matrix_csr_deviceILj256ELj256EfliEEvT3_S1_T2_PKT1_PKS2_PKS1_S9_21rocsparse_index_base_22rocsparse_matrix_type_20rocsparse_fill_mode_23rocsparse_storage_mode_P22rocsparse_data_status_.has_recursion, 0
	.set _ZN9rocsparseL23check_matrix_csr_deviceILj256ELj256EfliEEvT3_S1_T2_PKT1_PKS2_PKS1_S9_21rocsparse_index_base_22rocsparse_matrix_type_20rocsparse_fill_mode_23rocsparse_storage_mode_P22rocsparse_data_status_.has_indirect_call, 0
	.section	.AMDGPU.csdata,"",@progbits
; Kernel info:
; codeLenInByte = 904
; TotalNumSgprs: 50
; NumVgprs: 18
; ScratchSize: 0
; MemoryBound: 0
; FloatMode: 240
; IeeeMode: 1
; LDSByteSize: 0 bytes/workgroup (compile time only)
; SGPRBlocks: 6
; VGPRBlocks: 4
; NumSGPRsForWavesPerEU: 50
; NumVGPRsForWavesPerEU: 18
; Occupancy: 10
; WaveLimiterHint : 0
; COMPUTE_PGM_RSRC2:SCRATCH_EN: 0
; COMPUTE_PGM_RSRC2:USER_SGPR: 6
; COMPUTE_PGM_RSRC2:TRAP_HANDLER: 0
; COMPUTE_PGM_RSRC2:TGID_X_EN: 1
; COMPUTE_PGM_RSRC2:TGID_Y_EN: 0
; COMPUTE_PGM_RSRC2:TGID_Z_EN: 0
; COMPUTE_PGM_RSRC2:TIDIG_COMP_CNT: 0
	.section	.text._ZN9rocsparseL23check_matrix_csr_deviceILj256ELj4EdliEEvT3_S1_T2_PKT1_PKS2_PKS1_S9_21rocsparse_index_base_22rocsparse_matrix_type_20rocsparse_fill_mode_23rocsparse_storage_mode_P22rocsparse_data_status_,"axG",@progbits,_ZN9rocsparseL23check_matrix_csr_deviceILj256ELj4EdliEEvT3_S1_T2_PKT1_PKS2_PKS1_S9_21rocsparse_index_base_22rocsparse_matrix_type_20rocsparse_fill_mode_23rocsparse_storage_mode_P22rocsparse_data_status_,comdat
	.globl	_ZN9rocsparseL23check_matrix_csr_deviceILj256ELj4EdliEEvT3_S1_T2_PKT1_PKS2_PKS1_S9_21rocsparse_index_base_22rocsparse_matrix_type_20rocsparse_fill_mode_23rocsparse_storage_mode_P22rocsparse_data_status_ ; -- Begin function _ZN9rocsparseL23check_matrix_csr_deviceILj256ELj4EdliEEvT3_S1_T2_PKT1_PKS2_PKS1_S9_21rocsparse_index_base_22rocsparse_matrix_type_20rocsparse_fill_mode_23rocsparse_storage_mode_P22rocsparse_data_status_
	.p2align	8
	.type	_ZN9rocsparseL23check_matrix_csr_deviceILj256ELj4EdliEEvT3_S1_T2_PKT1_PKS2_PKS1_S9_21rocsparse_index_base_22rocsparse_matrix_type_20rocsparse_fill_mode_23rocsparse_storage_mode_P22rocsparse_data_status_,@function
_ZN9rocsparseL23check_matrix_csr_deviceILj256ELj4EdliEEvT3_S1_T2_PKT1_PKS2_PKS1_S9_21rocsparse_index_base_22rocsparse_matrix_type_20rocsparse_fill_mode_23rocsparse_storage_mode_P22rocsparse_data_status_: ; @_ZN9rocsparseL23check_matrix_csr_deviceILj256ELj4EdliEEvT3_S1_T2_PKT1_PKS2_PKS1_S9_21rocsparse_index_base_22rocsparse_matrix_type_20rocsparse_fill_mode_23rocsparse_storage_mode_P22rocsparse_data_status_
; %bb.0:
	s_load_dwordx2 s[16:17], s[4:5], 0x0
	v_lshl_or_b32 v1, s6, 8, v0
	v_lshrrev_b32_e32 v1, 2, v1
	s_waitcnt lgkmcnt(0)
	v_cmp_gt_i32_e32 vcc, s16, v1
	s_and_saveexec_b64 s[0:1], vcc
	s_cbranch_execz .LBB39_31
; %bb.1:
	s_load_dwordx2 s[0:1], s[4:5], 0x18
	v_mov_b32_e32 v2, 0
	v_lshlrev_b64 v[2:3], 3, v[1:2]
	v_mov_b32_e32 v16, 3
	s_mov_b64 s[10:11], -1
	s_waitcnt lgkmcnt(0)
	v_mov_b32_e32 v4, s1
	v_add_co_u32_e32 v2, vcc, s0, v2
	v_addc_co_u32_e32 v3, vcc, v4, v3, vcc
	global_load_dwordx4 v[6:9], v[2:3], off
	s_load_dwordx2 s[0:1], s[0:1], 0x0
	s_mov_b64 s[8:9], 0
	s_waitcnt lgkmcnt(0)
	v_mov_b32_e32 v5, s1
	s_waitcnt vmcnt(0)
	v_subrev_co_u32_e32 v2, vcc, s0, v6
	v_subb_co_u32_e32 v3, vcc, v7, v5, vcc
	v_subrev_co_u32_e32 v4, vcc, s0, v8
	v_subb_co_u32_e32 v5, vcc, v9, v5, vcc
	v_cmp_gt_i64_e64 s[0:1], 0, v[4:5]
	v_cmp_lt_i64_e64 s[2:3], v[8:9], v[6:7]
	v_cmp_lt_i64_e32 vcc, -1, v[2:3]
	s_or_b64 s[0:1], s[0:1], s[2:3]
	s_xor_b64 s[0:1], s[0:1], -1
	s_and_b64 s[0:1], vcc, s[0:1]
	s_and_saveexec_b64 s[6:7], s[0:1]
	s_cbranch_execz .LBB39_29
; %bb.2:
	v_and_b32_e32 v0, 3, v0
	v_add_co_u32_e32 v6, vcc, v2, v0
	v_addc_co_u32_e32 v7, vcc, 0, v3, vcc
	v_cmp_lt_u64_e32 vcc, v[6:7], v[4:5]
	v_mov_b32_e32 v16, 3
	s_and_saveexec_b64 s[18:19], vcc
	s_cbranch_execz .LBB39_28
; %bb.3:
	s_load_dwordx8 s[8:15], s[4:5], 0x20
	s_load_dwordx2 s[0:1], s[4:5], 0x10
	v_lshlrev_b64 v[12:13], 2, v[6:7]
	v_lshlrev_b64 v[10:11], 3, v[6:7]
                                        ; implicit-def: $sgpr24_sgpr25
                                        ; implicit-def: $sgpr26_sgpr27
                                        ; implicit-def: $sgpr28_sgpr29
	s_waitcnt lgkmcnt(0)
	v_mov_b32_e32 v0, s11
	v_add_co_u32_e32 v8, vcc, s10, v12
	v_addc_co_u32_e32 v0, vcc, v0, v13, vcc
	v_add_co_u32_e32 v8, vcc, -4, v8
	v_addc_co_u32_e32 v9, vcc, -1, v0, vcc
	s_cmp_lg_u32 s13, 0
	v_mov_b32_e32 v0, s1
	v_add_co_u32_e32 v10, vcc, s0, v10
	s_cselect_b64 s[20:21], -1, 0
	s_cmp_lg_u32 s14, 0
	v_addc_co_u32_e32 v11, vcc, v0, v11, vcc
	s_cselect_b64 s[22:23], -1, 0
	s_cmp_lg_u32 s15, 0
	v_mov_b32_e32 v0, s9
	v_add_co_u32_e32 v12, vcc, s8, v12
	s_mov_b32 s10, 0
	s_cselect_b64 s[14:15], -1, 0
	v_addc_co_u32_e32 v13, vcc, v0, v13, vcc
	s_mov_b32 s11, 0x7ff00000
	s_mov_b64 s[8:9], 0
	s_branch .LBB39_10
.LBB39_4:                               ;   in Loop: Header=BB39_10 Depth=1
	s_or_b64 exec, exec, s[0:1]
	s_orn2_b64 s[44:45], s[2:3], exec
	s_orn2_b64 s[0:1], s[40:41], exec
.LBB39_5:                               ;   in Loop: Header=BB39_10 Depth=1
	s_or_b64 exec, exec, s[42:43]
	s_orn2_b64 s[2:3], s[44:45], exec
	s_orn2_b64 s[0:1], s[0:1], exec
.LBB39_6:                               ;   in Loop: Header=BB39_10 Depth=1
	s_or_b64 exec, exec, s[38:39]
	s_orn2_b64 s[2:3], s[2:3], exec
	s_orn2_b64 s[0:1], s[0:1], exec
.LBB39_7:                               ;   in Loop: Header=BB39_10 Depth=1
	s_or_b64 exec, exec, s[36:37]
	s_orn2_b64 s[2:3], s[2:3], exec
	s_orn2_b64 s[0:1], s[0:1], exec
.LBB39_8:                               ;   in Loop: Header=BB39_10 Depth=1
	s_or_b64 exec, exec, s[34:35]
	s_andn2_b64 s[28:29], s[28:29], exec
	s_and_b64 s[2:3], s[2:3], exec
	s_or_b64 s[28:29], s[28:29], s[2:3]
	s_andn2_b64 s[2:3], s[26:27], exec
	s_and_b64 s[0:1], s[0:1], exec
	s_or_b64 s[26:27], s[2:3], s[0:1]
.LBB39_9:                               ;   in Loop: Header=BB39_10 Depth=1
	s_or_b64 exec, exec, s[30:31]
	s_and_b64 s[0:1], exec, s[26:27]
	s_or_b64 s[8:9], s[0:1], s[8:9]
	s_andn2_b64 s[0:1], s[24:25], exec
	s_and_b64 s[2:3], s[28:29], exec
	s_or_b64 s[24:25], s[0:1], s[2:3]
	s_andn2_b64 exec, exec, s[8:9]
	s_cbranch_execz .LBB39_27
.LBB39_10:                              ; =>This Inner Loop Header: Depth=1
	global_load_dword v0, v[12:13], off
	v_mov_b32_e32 v16, 4
	s_or_b64 s[28:29], s[28:29], exec
	s_or_b64 s[26:27], s[26:27], exec
	s_waitcnt vmcnt(0)
	v_subrev_u32_e32 v17, s12, v0
	v_cmp_lt_i32_e32 vcc, -1, v17
	v_cmp_gt_i32_e64 s[0:1], s17, v17
	s_and_b64 s[0:1], vcc, s[0:1]
	s_and_saveexec_b64 s[30:31], s[0:1]
	s_cbranch_execz .LBB39_9
; %bb.11:                               ;   in Loop: Header=BB39_10 Depth=1
	v_cmp_le_i64_e64 s[40:41], v[6:7], v[2:3]
	v_cmp_gt_i64_e32 vcc, v[6:7], v[2:3]
	v_mov_b32_e32 v16, 4
	s_mov_b64 s[36:37], s[40:41]
	s_and_saveexec_b64 s[34:35], vcc
	s_cbranch_execz .LBB39_13
; %bb.12:                               ;   in Loop: Header=BB39_10 Depth=1
	global_load_dwordx2 v[14:15], v[8:9], off
	v_mov_b32_e32 v16, 5
	s_waitcnt vmcnt(0)
	v_subrev_u32_e32 v18, s12, v14
	v_cmp_lt_i32_e64 s[0:1], -1, v18
	v_cmp_gt_i32_e64 s[2:3], s17, v18
	s_and_b64 s[0:1], s[0:1], s[2:3]
	v_cmp_ne_u32_e32 vcc, v15, v14
	s_xor_b64 s[0:1], s[0:1], -1
	s_or_b64 s[0:1], vcc, s[0:1]
	s_andn2_b64 s[2:3], s[40:41], exec
	s_and_b64 s[0:1], s[0:1], exec
	s_or_b64 s[36:37], s[2:3], s[0:1]
.LBB39_13:                              ;   in Loop: Header=BB39_10 Depth=1
	s_or_b64 exec, exec, s[34:35]
	s_mov_b64 s[0:1], -1
	s_mov_b64 s[2:3], -1
	s_and_saveexec_b64 s[34:35], s[36:37]
	s_cbranch_execz .LBB39_8
; %bb.14:                               ;   in Loop: Header=BB39_10 Depth=1
	global_load_dwordx2 v[14:15], v[10:11], off
	v_mov_b32_e32 v16, 1
	s_waitcnt vmcnt(0)
	v_cmp_neq_f64_e32 vcc, s[10:11], v[14:15]
	s_and_saveexec_b64 s[36:37], vcc
	s_cbranch_execz .LBB39_7
; %bb.15:                               ;   in Loop: Header=BB39_10 Depth=1
	v_cmp_o_f64_e32 vcc, v[14:15], v[14:15]
	v_mov_b32_e32 v16, 2
	s_and_saveexec_b64 s[38:39], vcc
	s_cbranch_execz .LBB39_6
; %bb.16:                               ;   in Loop: Header=BB39_10 Depth=1
	s_and_b64 vcc, exec, s[20:21]
	s_cbranch_vccz .LBB39_19
; %bb.17:                               ;   in Loop: Header=BB39_10 Depth=1
	s_and_b64 vcc, exec, s[22:23]
	s_cbranch_vccz .LBB39_20
; %bb.18:                               ;   in Loop: Header=BB39_10 Depth=1
	v_cmp_le_i32_e32 vcc, v1, v17
	s_mov_b32 s13, 7
	s_and_b64 s[2:3], vcc, exec
	s_cbranch_execz .LBB39_21
	s_branch .LBB39_22
.LBB39_19:                              ;   in Loop: Header=BB39_10 Depth=1
	s_mov_b32 s13, 2
	s_branch .LBB39_22
.LBB39_20:                              ;   in Loop: Header=BB39_10 Depth=1
	s_mov_b64 s[2:3], 0
	s_mov_b32 s13, 2
.LBB39_21:                              ;   in Loop: Header=BB39_10 Depth=1
	v_cmp_ge_i32_e32 vcc, v1, v17
	s_andn2_b64 s[2:3], s[2:3], exec
	s_and_b64 s[42:43], vcc, exec
	s_mov_b32 s13, 7
	s_or_b64 s[2:3], s[2:3], s[42:43]
.LBB39_22:                              ;   in Loop: Header=BB39_10 Depth=1
	v_mov_b32_e32 v16, s13
	s_mov_b64 s[44:45], -1
	s_and_saveexec_b64 s[42:43], s[2:3]
	s_cbranch_execz .LBB39_5
; %bb.23:                               ;   in Loop: Header=BB39_10 Depth=1
	s_nor_b64 s[0:1], s[14:15], s[40:41]
	s_mov_b64 s[40:41], -1
	v_mov_b32_e32 v16, s13
	s_and_saveexec_b64 s[46:47], s[0:1]
	s_cbranch_execz .LBB39_25
; %bb.24:                               ;   in Loop: Header=BB39_10 Depth=1
	global_load_dword v14, v[12:13], off offset:-4
	v_mov_b32_e32 v16, 6
	s_waitcnt vmcnt(0)
	v_subrev_u32_e32 v15, s12, v14
	v_cmp_lt_i32_e64 s[0:1], -1, v15
	v_cmp_gt_i32_e64 s[2:3], s17, v15
	s_and_b64 s[0:1], s[0:1], s[2:3]
	v_cmp_gt_i32_e32 vcc, v0, v14
	s_xor_b64 s[0:1], s[0:1], -1
	s_or_b64 s[0:1], vcc, s[0:1]
	s_orn2_b64 s[44:45], s[0:1], exec
.LBB39_25:                              ;   in Loop: Header=BB39_10 Depth=1
	s_or_b64 exec, exec, s[46:47]
	s_mov_b64 s[2:3], -1
	s_and_saveexec_b64 s[0:1], s[44:45]
	s_cbranch_execz .LBB39_4
; %bb.26:                               ;   in Loop: Header=BB39_10 Depth=1
	v_add_co_u32_e32 v6, vcc, 4, v6
	v_addc_co_u32_e32 v7, vcc, 0, v7, vcc
	v_add_co_u32_e32 v8, vcc, 16, v8
	v_addc_co_u32_e32 v9, vcc, 0, v9, vcc
	;; [unrolled: 2-line block ×4, first 2 shown]
	v_cmp_ge_i64_e32 vcc, v[6:7], v[4:5]
	s_xor_b64 s[2:3], exec, -1
	s_orn2_b64 s[40:41], vcc, exec
	s_branch .LBB39_4
.LBB39_27:
	s_or_b64 exec, exec, s[8:9]
	s_and_b64 s[8:9], s[24:25], exec
.LBB39_28:
	s_or_b64 exec, exec, s[18:19]
	s_orn2_b64 s[10:11], s[8:9], exec
.LBB39_29:
	s_or_b64 exec, exec, s[6:7]
	s_and_b64 exec, exec, s[10:11]
	s_cbranch_execz .LBB39_31
; %bb.30:
	s_load_dwordx2 s[0:1], s[4:5], 0x40
	v_mov_b32_e32 v0, 0
	s_waitcnt lgkmcnt(0)
	global_store_dword v0, v16, s[0:1]
.LBB39_31:
	s_endpgm
	.section	.rodata,"a",@progbits
	.p2align	6, 0x0
	.amdhsa_kernel _ZN9rocsparseL23check_matrix_csr_deviceILj256ELj4EdliEEvT3_S1_T2_PKT1_PKS2_PKS1_S9_21rocsparse_index_base_22rocsparse_matrix_type_20rocsparse_fill_mode_23rocsparse_storage_mode_P22rocsparse_data_status_
		.amdhsa_group_segment_fixed_size 0
		.amdhsa_private_segment_fixed_size 0
		.amdhsa_kernarg_size 72
		.amdhsa_user_sgpr_count 6
		.amdhsa_user_sgpr_private_segment_buffer 1
		.amdhsa_user_sgpr_dispatch_ptr 0
		.amdhsa_user_sgpr_queue_ptr 0
		.amdhsa_user_sgpr_kernarg_segment_ptr 1
		.amdhsa_user_sgpr_dispatch_id 0
		.amdhsa_user_sgpr_flat_scratch_init 0
		.amdhsa_user_sgpr_private_segment_size 0
		.amdhsa_uses_dynamic_stack 0
		.amdhsa_system_sgpr_private_segment_wavefront_offset 0
		.amdhsa_system_sgpr_workgroup_id_x 1
		.amdhsa_system_sgpr_workgroup_id_y 0
		.amdhsa_system_sgpr_workgroup_id_z 0
		.amdhsa_system_sgpr_workgroup_info 0
		.amdhsa_system_vgpr_workitem_id 0
		.amdhsa_next_free_vgpr 19
		.amdhsa_next_free_sgpr 48
		.amdhsa_reserve_vcc 1
		.amdhsa_reserve_flat_scratch 0
		.amdhsa_float_round_mode_32 0
		.amdhsa_float_round_mode_16_64 0
		.amdhsa_float_denorm_mode_32 3
		.amdhsa_float_denorm_mode_16_64 3
		.amdhsa_dx10_clamp 1
		.amdhsa_ieee_mode 1
		.amdhsa_fp16_overflow 0
		.amdhsa_exception_fp_ieee_invalid_op 0
		.amdhsa_exception_fp_denorm_src 0
		.amdhsa_exception_fp_ieee_div_zero 0
		.amdhsa_exception_fp_ieee_overflow 0
		.amdhsa_exception_fp_ieee_underflow 0
		.amdhsa_exception_fp_ieee_inexact 0
		.amdhsa_exception_int_div_zero 0
	.end_amdhsa_kernel
	.section	.text._ZN9rocsparseL23check_matrix_csr_deviceILj256ELj4EdliEEvT3_S1_T2_PKT1_PKS2_PKS1_S9_21rocsparse_index_base_22rocsparse_matrix_type_20rocsparse_fill_mode_23rocsparse_storage_mode_P22rocsparse_data_status_,"axG",@progbits,_ZN9rocsparseL23check_matrix_csr_deviceILj256ELj4EdliEEvT3_S1_T2_PKT1_PKS2_PKS1_S9_21rocsparse_index_base_22rocsparse_matrix_type_20rocsparse_fill_mode_23rocsparse_storage_mode_P22rocsparse_data_status_,comdat
.Lfunc_end39:
	.size	_ZN9rocsparseL23check_matrix_csr_deviceILj256ELj4EdliEEvT3_S1_T2_PKT1_PKS2_PKS1_S9_21rocsparse_index_base_22rocsparse_matrix_type_20rocsparse_fill_mode_23rocsparse_storage_mode_P22rocsparse_data_status_, .Lfunc_end39-_ZN9rocsparseL23check_matrix_csr_deviceILj256ELj4EdliEEvT3_S1_T2_PKT1_PKS2_PKS1_S9_21rocsparse_index_base_22rocsparse_matrix_type_20rocsparse_fill_mode_23rocsparse_storage_mode_P22rocsparse_data_status_
                                        ; -- End function
	.set _ZN9rocsparseL23check_matrix_csr_deviceILj256ELj4EdliEEvT3_S1_T2_PKT1_PKS2_PKS1_S9_21rocsparse_index_base_22rocsparse_matrix_type_20rocsparse_fill_mode_23rocsparse_storage_mode_P22rocsparse_data_status_.num_vgpr, 19
	.set _ZN9rocsparseL23check_matrix_csr_deviceILj256ELj4EdliEEvT3_S1_T2_PKT1_PKS2_PKS1_S9_21rocsparse_index_base_22rocsparse_matrix_type_20rocsparse_fill_mode_23rocsparse_storage_mode_P22rocsparse_data_status_.num_agpr, 0
	.set _ZN9rocsparseL23check_matrix_csr_deviceILj256ELj4EdliEEvT3_S1_T2_PKT1_PKS2_PKS1_S9_21rocsparse_index_base_22rocsparse_matrix_type_20rocsparse_fill_mode_23rocsparse_storage_mode_P22rocsparse_data_status_.numbered_sgpr, 48
	.set _ZN9rocsparseL23check_matrix_csr_deviceILj256ELj4EdliEEvT3_S1_T2_PKT1_PKS2_PKS1_S9_21rocsparse_index_base_22rocsparse_matrix_type_20rocsparse_fill_mode_23rocsparse_storage_mode_P22rocsparse_data_status_.num_named_barrier, 0
	.set _ZN9rocsparseL23check_matrix_csr_deviceILj256ELj4EdliEEvT3_S1_T2_PKT1_PKS2_PKS1_S9_21rocsparse_index_base_22rocsparse_matrix_type_20rocsparse_fill_mode_23rocsparse_storage_mode_P22rocsparse_data_status_.private_seg_size, 0
	.set _ZN9rocsparseL23check_matrix_csr_deviceILj256ELj4EdliEEvT3_S1_T2_PKT1_PKS2_PKS1_S9_21rocsparse_index_base_22rocsparse_matrix_type_20rocsparse_fill_mode_23rocsparse_storage_mode_P22rocsparse_data_status_.uses_vcc, 1
	.set _ZN9rocsparseL23check_matrix_csr_deviceILj256ELj4EdliEEvT3_S1_T2_PKT1_PKS2_PKS1_S9_21rocsparse_index_base_22rocsparse_matrix_type_20rocsparse_fill_mode_23rocsparse_storage_mode_P22rocsparse_data_status_.uses_flat_scratch, 0
	.set _ZN9rocsparseL23check_matrix_csr_deviceILj256ELj4EdliEEvT3_S1_T2_PKT1_PKS2_PKS1_S9_21rocsparse_index_base_22rocsparse_matrix_type_20rocsparse_fill_mode_23rocsparse_storage_mode_P22rocsparse_data_status_.has_dyn_sized_stack, 0
	.set _ZN9rocsparseL23check_matrix_csr_deviceILj256ELj4EdliEEvT3_S1_T2_PKT1_PKS2_PKS1_S9_21rocsparse_index_base_22rocsparse_matrix_type_20rocsparse_fill_mode_23rocsparse_storage_mode_P22rocsparse_data_status_.has_recursion, 0
	.set _ZN9rocsparseL23check_matrix_csr_deviceILj256ELj4EdliEEvT3_S1_T2_PKT1_PKS2_PKS1_S9_21rocsparse_index_base_22rocsparse_matrix_type_20rocsparse_fill_mode_23rocsparse_storage_mode_P22rocsparse_data_status_.has_indirect_call, 0
	.section	.AMDGPU.csdata,"",@progbits
; Kernel info:
; codeLenInByte = 920
; TotalNumSgprs: 52
; NumVgprs: 19
; ScratchSize: 0
; MemoryBound: 0
; FloatMode: 240
; IeeeMode: 1
; LDSByteSize: 0 bytes/workgroup (compile time only)
; SGPRBlocks: 6
; VGPRBlocks: 4
; NumSGPRsForWavesPerEU: 52
; NumVGPRsForWavesPerEU: 19
; Occupancy: 10
; WaveLimiterHint : 0
; COMPUTE_PGM_RSRC2:SCRATCH_EN: 0
; COMPUTE_PGM_RSRC2:USER_SGPR: 6
; COMPUTE_PGM_RSRC2:TRAP_HANDLER: 0
; COMPUTE_PGM_RSRC2:TGID_X_EN: 1
; COMPUTE_PGM_RSRC2:TGID_Y_EN: 0
; COMPUTE_PGM_RSRC2:TGID_Z_EN: 0
; COMPUTE_PGM_RSRC2:TIDIG_COMP_CNT: 0
	.section	.text._ZN9rocsparseL23check_matrix_csr_deviceILj256ELj8EdliEEvT3_S1_T2_PKT1_PKS2_PKS1_S9_21rocsparse_index_base_22rocsparse_matrix_type_20rocsparse_fill_mode_23rocsparse_storage_mode_P22rocsparse_data_status_,"axG",@progbits,_ZN9rocsparseL23check_matrix_csr_deviceILj256ELj8EdliEEvT3_S1_T2_PKT1_PKS2_PKS1_S9_21rocsparse_index_base_22rocsparse_matrix_type_20rocsparse_fill_mode_23rocsparse_storage_mode_P22rocsparse_data_status_,comdat
	.globl	_ZN9rocsparseL23check_matrix_csr_deviceILj256ELj8EdliEEvT3_S1_T2_PKT1_PKS2_PKS1_S9_21rocsparse_index_base_22rocsparse_matrix_type_20rocsparse_fill_mode_23rocsparse_storage_mode_P22rocsparse_data_status_ ; -- Begin function _ZN9rocsparseL23check_matrix_csr_deviceILj256ELj8EdliEEvT3_S1_T2_PKT1_PKS2_PKS1_S9_21rocsparse_index_base_22rocsparse_matrix_type_20rocsparse_fill_mode_23rocsparse_storage_mode_P22rocsparse_data_status_
	.p2align	8
	.type	_ZN9rocsparseL23check_matrix_csr_deviceILj256ELj8EdliEEvT3_S1_T2_PKT1_PKS2_PKS1_S9_21rocsparse_index_base_22rocsparse_matrix_type_20rocsparse_fill_mode_23rocsparse_storage_mode_P22rocsparse_data_status_,@function
_ZN9rocsparseL23check_matrix_csr_deviceILj256ELj8EdliEEvT3_S1_T2_PKT1_PKS2_PKS1_S9_21rocsparse_index_base_22rocsparse_matrix_type_20rocsparse_fill_mode_23rocsparse_storage_mode_P22rocsparse_data_status_: ; @_ZN9rocsparseL23check_matrix_csr_deviceILj256ELj8EdliEEvT3_S1_T2_PKT1_PKS2_PKS1_S9_21rocsparse_index_base_22rocsparse_matrix_type_20rocsparse_fill_mode_23rocsparse_storage_mode_P22rocsparse_data_status_
; %bb.0:
	s_load_dwordx2 s[16:17], s[4:5], 0x0
	v_lshl_or_b32 v1, s6, 8, v0
	v_lshrrev_b32_e32 v15, 3, v1
	s_waitcnt lgkmcnt(0)
	v_cmp_gt_i32_e32 vcc, s16, v15
	s_and_saveexec_b64 s[0:1], vcc
	s_cbranch_execz .LBB40_31
; %bb.1:
	s_load_dwordx2 s[0:1], s[4:5], 0x18
	v_lshlrev_b32_e32 v1, 3, v15
	v_mov_b32_e32 v16, 3
	s_mov_b64 s[10:11], -1
	s_mov_b64 s[8:9], 0
	s_waitcnt lgkmcnt(0)
	global_load_dwordx4 v[5:8], v1, s[0:1]
	s_load_dwordx2 s[0:1], s[0:1], 0x0
	s_waitcnt lgkmcnt(0)
	v_mov_b32_e32 v4, s1
	s_waitcnt vmcnt(0)
	v_subrev_co_u32_e32 v1, vcc, s0, v5
	v_subb_co_u32_e32 v2, vcc, v6, v4, vcc
	v_subrev_co_u32_e32 v3, vcc, s0, v7
	v_subb_co_u32_e32 v4, vcc, v8, v4, vcc
	v_cmp_gt_i64_e64 s[0:1], 0, v[3:4]
	v_cmp_lt_i64_e64 s[2:3], v[7:8], v[5:6]
	v_cmp_lt_i64_e32 vcc, -1, v[1:2]
	s_or_b64 s[0:1], s[0:1], s[2:3]
	s_xor_b64 s[0:1], s[0:1], -1
	s_and_b64 s[0:1], vcc, s[0:1]
	s_and_saveexec_b64 s[6:7], s[0:1]
	s_cbranch_execz .LBB40_29
; %bb.2:
	v_and_b32_e32 v0, 7, v0
	v_add_co_u32_e32 v5, vcc, v1, v0
	v_addc_co_u32_e32 v6, vcc, 0, v2, vcc
	v_cmp_lt_u64_e32 vcc, v[5:6], v[3:4]
	v_mov_b32_e32 v16, 3
	s_and_saveexec_b64 s[18:19], vcc
	s_cbranch_execz .LBB40_28
; %bb.3:
	s_load_dwordx8 s[8:15], s[4:5], 0x20
	s_load_dwordx2 s[0:1], s[4:5], 0x10
	v_lshlrev_b64 v[11:12], 2, v[5:6]
	v_lshlrev_b64 v[9:10], 3, v[5:6]
                                        ; implicit-def: $sgpr24_sgpr25
                                        ; implicit-def: $sgpr26_sgpr27
                                        ; implicit-def: $sgpr28_sgpr29
	s_waitcnt lgkmcnt(0)
	v_mov_b32_e32 v0, s11
	v_add_co_u32_e32 v7, vcc, s10, v11
	v_addc_co_u32_e32 v0, vcc, v0, v12, vcc
	v_add_co_u32_e32 v7, vcc, -4, v7
	v_addc_co_u32_e32 v8, vcc, -1, v0, vcc
	s_cmp_lg_u32 s13, 0
	v_mov_b32_e32 v0, s1
	v_add_co_u32_e32 v9, vcc, s0, v9
	s_cselect_b64 s[20:21], -1, 0
	s_cmp_lg_u32 s14, 0
	v_addc_co_u32_e32 v10, vcc, v0, v10, vcc
	s_cselect_b64 s[22:23], -1, 0
	s_cmp_lg_u32 s15, 0
	v_mov_b32_e32 v0, s9
	v_add_co_u32_e32 v11, vcc, s8, v11
	s_mov_b32 s10, 0
	s_cselect_b64 s[14:15], -1, 0
	v_addc_co_u32_e32 v12, vcc, v0, v12, vcc
	s_mov_b32 s11, 0x7ff00000
	s_mov_b64 s[8:9], 0
	s_branch .LBB40_10
.LBB40_4:                               ;   in Loop: Header=BB40_10 Depth=1
	s_or_b64 exec, exec, s[0:1]
	s_orn2_b64 s[44:45], s[2:3], exec
	s_orn2_b64 s[0:1], s[40:41], exec
.LBB40_5:                               ;   in Loop: Header=BB40_10 Depth=1
	s_or_b64 exec, exec, s[42:43]
	s_orn2_b64 s[2:3], s[44:45], exec
	s_orn2_b64 s[0:1], s[0:1], exec
.LBB40_6:                               ;   in Loop: Header=BB40_10 Depth=1
	s_or_b64 exec, exec, s[38:39]
	s_orn2_b64 s[2:3], s[2:3], exec
	s_orn2_b64 s[0:1], s[0:1], exec
.LBB40_7:                               ;   in Loop: Header=BB40_10 Depth=1
	s_or_b64 exec, exec, s[36:37]
	s_orn2_b64 s[2:3], s[2:3], exec
	s_orn2_b64 s[0:1], s[0:1], exec
.LBB40_8:                               ;   in Loop: Header=BB40_10 Depth=1
	s_or_b64 exec, exec, s[34:35]
	s_andn2_b64 s[28:29], s[28:29], exec
	s_and_b64 s[2:3], s[2:3], exec
	s_or_b64 s[28:29], s[28:29], s[2:3]
	s_andn2_b64 s[2:3], s[26:27], exec
	s_and_b64 s[0:1], s[0:1], exec
	s_or_b64 s[26:27], s[2:3], s[0:1]
.LBB40_9:                               ;   in Loop: Header=BB40_10 Depth=1
	s_or_b64 exec, exec, s[30:31]
	s_and_b64 s[0:1], exec, s[26:27]
	s_or_b64 s[8:9], s[0:1], s[8:9]
	s_andn2_b64 s[0:1], s[24:25], exec
	s_and_b64 s[2:3], s[28:29], exec
	s_or_b64 s[24:25], s[0:1], s[2:3]
	s_andn2_b64 exec, exec, s[8:9]
	s_cbranch_execz .LBB40_27
.LBB40_10:                              ; =>This Inner Loop Header: Depth=1
	global_load_dword v0, v[11:12], off
	v_mov_b32_e32 v16, 4
	s_or_b64 s[28:29], s[28:29], exec
	s_or_b64 s[26:27], s[26:27], exec
	s_waitcnt vmcnt(0)
	v_subrev_u32_e32 v17, s12, v0
	v_cmp_lt_i32_e32 vcc, -1, v17
	v_cmp_gt_i32_e64 s[0:1], s17, v17
	s_and_b64 s[0:1], vcc, s[0:1]
	s_and_saveexec_b64 s[30:31], s[0:1]
	s_cbranch_execz .LBB40_9
; %bb.11:                               ;   in Loop: Header=BB40_10 Depth=1
	v_cmp_le_i64_e64 s[40:41], v[5:6], v[1:2]
	v_cmp_gt_i64_e32 vcc, v[5:6], v[1:2]
	v_mov_b32_e32 v16, 4
	s_mov_b64 s[36:37], s[40:41]
	s_and_saveexec_b64 s[34:35], vcc
	s_cbranch_execz .LBB40_13
; %bb.12:                               ;   in Loop: Header=BB40_10 Depth=1
	global_load_dwordx2 v[13:14], v[7:8], off
	v_mov_b32_e32 v16, 5
	s_waitcnt vmcnt(0)
	v_subrev_u32_e32 v18, s12, v13
	v_cmp_lt_i32_e64 s[0:1], -1, v18
	v_cmp_gt_i32_e64 s[2:3], s17, v18
	s_and_b64 s[0:1], s[0:1], s[2:3]
	v_cmp_ne_u32_e32 vcc, v14, v13
	s_xor_b64 s[0:1], s[0:1], -1
	s_or_b64 s[0:1], vcc, s[0:1]
	s_andn2_b64 s[2:3], s[40:41], exec
	s_and_b64 s[0:1], s[0:1], exec
	s_or_b64 s[36:37], s[2:3], s[0:1]
.LBB40_13:                              ;   in Loop: Header=BB40_10 Depth=1
	s_or_b64 exec, exec, s[34:35]
	s_mov_b64 s[0:1], -1
	s_mov_b64 s[2:3], -1
	s_and_saveexec_b64 s[34:35], s[36:37]
	s_cbranch_execz .LBB40_8
; %bb.14:                               ;   in Loop: Header=BB40_10 Depth=1
	global_load_dwordx2 v[13:14], v[9:10], off
	v_mov_b32_e32 v16, 1
	s_waitcnt vmcnt(0)
	v_cmp_neq_f64_e32 vcc, s[10:11], v[13:14]
	s_and_saveexec_b64 s[36:37], vcc
	s_cbranch_execz .LBB40_7
; %bb.15:                               ;   in Loop: Header=BB40_10 Depth=1
	v_cmp_o_f64_e32 vcc, v[13:14], v[13:14]
	v_mov_b32_e32 v16, 2
	s_and_saveexec_b64 s[38:39], vcc
	s_cbranch_execz .LBB40_6
; %bb.16:                               ;   in Loop: Header=BB40_10 Depth=1
	s_and_b64 vcc, exec, s[20:21]
	s_cbranch_vccz .LBB40_19
; %bb.17:                               ;   in Loop: Header=BB40_10 Depth=1
	s_and_b64 vcc, exec, s[22:23]
	s_cbranch_vccz .LBB40_20
; %bb.18:                               ;   in Loop: Header=BB40_10 Depth=1
	v_cmp_le_i32_e32 vcc, v15, v17
	s_mov_b32 s13, 7
	s_and_b64 s[2:3], vcc, exec
	s_cbranch_execz .LBB40_21
	s_branch .LBB40_22
.LBB40_19:                              ;   in Loop: Header=BB40_10 Depth=1
	s_mov_b32 s13, 2
	s_branch .LBB40_22
.LBB40_20:                              ;   in Loop: Header=BB40_10 Depth=1
	s_mov_b64 s[2:3], 0
	s_mov_b32 s13, 2
.LBB40_21:                              ;   in Loop: Header=BB40_10 Depth=1
	v_cmp_ge_i32_e32 vcc, v15, v17
	s_andn2_b64 s[2:3], s[2:3], exec
	s_and_b64 s[42:43], vcc, exec
	s_mov_b32 s13, 7
	s_or_b64 s[2:3], s[2:3], s[42:43]
.LBB40_22:                              ;   in Loop: Header=BB40_10 Depth=1
	v_mov_b32_e32 v16, s13
	s_mov_b64 s[44:45], -1
	s_and_saveexec_b64 s[42:43], s[2:3]
	s_cbranch_execz .LBB40_5
; %bb.23:                               ;   in Loop: Header=BB40_10 Depth=1
	s_nor_b64 s[0:1], s[14:15], s[40:41]
	s_mov_b64 s[40:41], -1
	v_mov_b32_e32 v16, s13
	s_and_saveexec_b64 s[46:47], s[0:1]
	s_cbranch_execz .LBB40_25
; %bb.24:                               ;   in Loop: Header=BB40_10 Depth=1
	global_load_dword v13, v[11:12], off offset:-4
	v_mov_b32_e32 v16, 6
	s_waitcnt vmcnt(0)
	v_subrev_u32_e32 v14, s12, v13
	v_cmp_lt_i32_e64 s[0:1], -1, v14
	v_cmp_gt_i32_e64 s[2:3], s17, v14
	s_and_b64 s[0:1], s[0:1], s[2:3]
	v_cmp_gt_i32_e32 vcc, v0, v13
	s_xor_b64 s[0:1], s[0:1], -1
	s_or_b64 s[0:1], vcc, s[0:1]
	s_orn2_b64 s[44:45], s[0:1], exec
.LBB40_25:                              ;   in Loop: Header=BB40_10 Depth=1
	s_or_b64 exec, exec, s[46:47]
	s_mov_b64 s[2:3], -1
	s_and_saveexec_b64 s[0:1], s[44:45]
	s_cbranch_execz .LBB40_4
; %bb.26:                               ;   in Loop: Header=BB40_10 Depth=1
	v_add_co_u32_e32 v5, vcc, 8, v5
	v_addc_co_u32_e32 v6, vcc, 0, v6, vcc
	v_add_co_u32_e32 v7, vcc, 32, v7
	v_addc_co_u32_e32 v8, vcc, 0, v8, vcc
	;; [unrolled: 2-line block ×4, first 2 shown]
	v_cmp_ge_i64_e32 vcc, v[5:6], v[3:4]
	s_xor_b64 s[2:3], exec, -1
	s_orn2_b64 s[40:41], vcc, exec
	s_branch .LBB40_4
.LBB40_27:
	s_or_b64 exec, exec, s[8:9]
	s_and_b64 s[8:9], s[24:25], exec
.LBB40_28:
	s_or_b64 exec, exec, s[18:19]
	s_orn2_b64 s[10:11], s[8:9], exec
.LBB40_29:
	s_or_b64 exec, exec, s[6:7]
	s_and_b64 exec, exec, s[10:11]
	s_cbranch_execz .LBB40_31
; %bb.30:
	s_load_dwordx2 s[0:1], s[4:5], 0x40
	v_mov_b32_e32 v0, 0
	s_waitcnt lgkmcnt(0)
	global_store_dword v0, v16, s[0:1]
.LBB40_31:
	s_endpgm
	.section	.rodata,"a",@progbits
	.p2align	6, 0x0
	.amdhsa_kernel _ZN9rocsparseL23check_matrix_csr_deviceILj256ELj8EdliEEvT3_S1_T2_PKT1_PKS2_PKS1_S9_21rocsparse_index_base_22rocsparse_matrix_type_20rocsparse_fill_mode_23rocsparse_storage_mode_P22rocsparse_data_status_
		.amdhsa_group_segment_fixed_size 0
		.amdhsa_private_segment_fixed_size 0
		.amdhsa_kernarg_size 72
		.amdhsa_user_sgpr_count 6
		.amdhsa_user_sgpr_private_segment_buffer 1
		.amdhsa_user_sgpr_dispatch_ptr 0
		.amdhsa_user_sgpr_queue_ptr 0
		.amdhsa_user_sgpr_kernarg_segment_ptr 1
		.amdhsa_user_sgpr_dispatch_id 0
		.amdhsa_user_sgpr_flat_scratch_init 0
		.amdhsa_user_sgpr_private_segment_size 0
		.amdhsa_uses_dynamic_stack 0
		.amdhsa_system_sgpr_private_segment_wavefront_offset 0
		.amdhsa_system_sgpr_workgroup_id_x 1
		.amdhsa_system_sgpr_workgroup_id_y 0
		.amdhsa_system_sgpr_workgroup_id_z 0
		.amdhsa_system_sgpr_workgroup_info 0
		.amdhsa_system_vgpr_workitem_id 0
		.amdhsa_next_free_vgpr 19
		.amdhsa_next_free_sgpr 48
		.amdhsa_reserve_vcc 1
		.amdhsa_reserve_flat_scratch 0
		.amdhsa_float_round_mode_32 0
		.amdhsa_float_round_mode_16_64 0
		.amdhsa_float_denorm_mode_32 3
		.amdhsa_float_denorm_mode_16_64 3
		.amdhsa_dx10_clamp 1
		.amdhsa_ieee_mode 1
		.amdhsa_fp16_overflow 0
		.amdhsa_exception_fp_ieee_invalid_op 0
		.amdhsa_exception_fp_denorm_src 0
		.amdhsa_exception_fp_ieee_div_zero 0
		.amdhsa_exception_fp_ieee_overflow 0
		.amdhsa_exception_fp_ieee_underflow 0
		.amdhsa_exception_fp_ieee_inexact 0
		.amdhsa_exception_int_div_zero 0
	.end_amdhsa_kernel
	.section	.text._ZN9rocsparseL23check_matrix_csr_deviceILj256ELj8EdliEEvT3_S1_T2_PKT1_PKS2_PKS1_S9_21rocsparse_index_base_22rocsparse_matrix_type_20rocsparse_fill_mode_23rocsparse_storage_mode_P22rocsparse_data_status_,"axG",@progbits,_ZN9rocsparseL23check_matrix_csr_deviceILj256ELj8EdliEEvT3_S1_T2_PKT1_PKS2_PKS1_S9_21rocsparse_index_base_22rocsparse_matrix_type_20rocsparse_fill_mode_23rocsparse_storage_mode_P22rocsparse_data_status_,comdat
.Lfunc_end40:
	.size	_ZN9rocsparseL23check_matrix_csr_deviceILj256ELj8EdliEEvT3_S1_T2_PKT1_PKS2_PKS1_S9_21rocsparse_index_base_22rocsparse_matrix_type_20rocsparse_fill_mode_23rocsparse_storage_mode_P22rocsparse_data_status_, .Lfunc_end40-_ZN9rocsparseL23check_matrix_csr_deviceILj256ELj8EdliEEvT3_S1_T2_PKT1_PKS2_PKS1_S9_21rocsparse_index_base_22rocsparse_matrix_type_20rocsparse_fill_mode_23rocsparse_storage_mode_P22rocsparse_data_status_
                                        ; -- End function
	.set _ZN9rocsparseL23check_matrix_csr_deviceILj256ELj8EdliEEvT3_S1_T2_PKT1_PKS2_PKS1_S9_21rocsparse_index_base_22rocsparse_matrix_type_20rocsparse_fill_mode_23rocsparse_storage_mode_P22rocsparse_data_status_.num_vgpr, 19
	.set _ZN9rocsparseL23check_matrix_csr_deviceILj256ELj8EdliEEvT3_S1_T2_PKT1_PKS2_PKS1_S9_21rocsparse_index_base_22rocsparse_matrix_type_20rocsparse_fill_mode_23rocsparse_storage_mode_P22rocsparse_data_status_.num_agpr, 0
	.set _ZN9rocsparseL23check_matrix_csr_deviceILj256ELj8EdliEEvT3_S1_T2_PKT1_PKS2_PKS1_S9_21rocsparse_index_base_22rocsparse_matrix_type_20rocsparse_fill_mode_23rocsparse_storage_mode_P22rocsparse_data_status_.numbered_sgpr, 48
	.set _ZN9rocsparseL23check_matrix_csr_deviceILj256ELj8EdliEEvT3_S1_T2_PKT1_PKS2_PKS1_S9_21rocsparse_index_base_22rocsparse_matrix_type_20rocsparse_fill_mode_23rocsparse_storage_mode_P22rocsparse_data_status_.num_named_barrier, 0
	.set _ZN9rocsparseL23check_matrix_csr_deviceILj256ELj8EdliEEvT3_S1_T2_PKT1_PKS2_PKS1_S9_21rocsparse_index_base_22rocsparse_matrix_type_20rocsparse_fill_mode_23rocsparse_storage_mode_P22rocsparse_data_status_.private_seg_size, 0
	.set _ZN9rocsparseL23check_matrix_csr_deviceILj256ELj8EdliEEvT3_S1_T2_PKT1_PKS2_PKS1_S9_21rocsparse_index_base_22rocsparse_matrix_type_20rocsparse_fill_mode_23rocsparse_storage_mode_P22rocsparse_data_status_.uses_vcc, 1
	.set _ZN9rocsparseL23check_matrix_csr_deviceILj256ELj8EdliEEvT3_S1_T2_PKT1_PKS2_PKS1_S9_21rocsparse_index_base_22rocsparse_matrix_type_20rocsparse_fill_mode_23rocsparse_storage_mode_P22rocsparse_data_status_.uses_flat_scratch, 0
	.set _ZN9rocsparseL23check_matrix_csr_deviceILj256ELj8EdliEEvT3_S1_T2_PKT1_PKS2_PKS1_S9_21rocsparse_index_base_22rocsparse_matrix_type_20rocsparse_fill_mode_23rocsparse_storage_mode_P22rocsparse_data_status_.has_dyn_sized_stack, 0
	.set _ZN9rocsparseL23check_matrix_csr_deviceILj256ELj8EdliEEvT3_S1_T2_PKT1_PKS2_PKS1_S9_21rocsparse_index_base_22rocsparse_matrix_type_20rocsparse_fill_mode_23rocsparse_storage_mode_P22rocsparse_data_status_.has_recursion, 0
	.set _ZN9rocsparseL23check_matrix_csr_deviceILj256ELj8EdliEEvT3_S1_T2_PKT1_PKS2_PKS1_S9_21rocsparse_index_base_22rocsparse_matrix_type_20rocsparse_fill_mode_23rocsparse_storage_mode_P22rocsparse_data_status_.has_indirect_call, 0
	.section	.AMDGPU.csdata,"",@progbits
; Kernel info:
; codeLenInByte = 900
; TotalNumSgprs: 52
; NumVgprs: 19
; ScratchSize: 0
; MemoryBound: 0
; FloatMode: 240
; IeeeMode: 1
; LDSByteSize: 0 bytes/workgroup (compile time only)
; SGPRBlocks: 6
; VGPRBlocks: 4
; NumSGPRsForWavesPerEU: 52
; NumVGPRsForWavesPerEU: 19
; Occupancy: 10
; WaveLimiterHint : 0
; COMPUTE_PGM_RSRC2:SCRATCH_EN: 0
; COMPUTE_PGM_RSRC2:USER_SGPR: 6
; COMPUTE_PGM_RSRC2:TRAP_HANDLER: 0
; COMPUTE_PGM_RSRC2:TGID_X_EN: 1
; COMPUTE_PGM_RSRC2:TGID_Y_EN: 0
; COMPUTE_PGM_RSRC2:TGID_Z_EN: 0
; COMPUTE_PGM_RSRC2:TIDIG_COMP_CNT: 0
	.section	.text._ZN9rocsparseL23check_matrix_csr_deviceILj256ELj16EdliEEvT3_S1_T2_PKT1_PKS2_PKS1_S9_21rocsparse_index_base_22rocsparse_matrix_type_20rocsparse_fill_mode_23rocsparse_storage_mode_P22rocsparse_data_status_,"axG",@progbits,_ZN9rocsparseL23check_matrix_csr_deviceILj256ELj16EdliEEvT3_S1_T2_PKT1_PKS2_PKS1_S9_21rocsparse_index_base_22rocsparse_matrix_type_20rocsparse_fill_mode_23rocsparse_storage_mode_P22rocsparse_data_status_,comdat
	.globl	_ZN9rocsparseL23check_matrix_csr_deviceILj256ELj16EdliEEvT3_S1_T2_PKT1_PKS2_PKS1_S9_21rocsparse_index_base_22rocsparse_matrix_type_20rocsparse_fill_mode_23rocsparse_storage_mode_P22rocsparse_data_status_ ; -- Begin function _ZN9rocsparseL23check_matrix_csr_deviceILj256ELj16EdliEEvT3_S1_T2_PKT1_PKS2_PKS1_S9_21rocsparse_index_base_22rocsparse_matrix_type_20rocsparse_fill_mode_23rocsparse_storage_mode_P22rocsparse_data_status_
	.p2align	8
	.type	_ZN9rocsparseL23check_matrix_csr_deviceILj256ELj16EdliEEvT3_S1_T2_PKT1_PKS2_PKS1_S9_21rocsparse_index_base_22rocsparse_matrix_type_20rocsparse_fill_mode_23rocsparse_storage_mode_P22rocsparse_data_status_,@function
_ZN9rocsparseL23check_matrix_csr_deviceILj256ELj16EdliEEvT3_S1_T2_PKT1_PKS2_PKS1_S9_21rocsparse_index_base_22rocsparse_matrix_type_20rocsparse_fill_mode_23rocsparse_storage_mode_P22rocsparse_data_status_: ; @_ZN9rocsparseL23check_matrix_csr_deviceILj256ELj16EdliEEvT3_S1_T2_PKT1_PKS2_PKS1_S9_21rocsparse_index_base_22rocsparse_matrix_type_20rocsparse_fill_mode_23rocsparse_storage_mode_P22rocsparse_data_status_
; %bb.0:
	s_load_dwordx2 s[16:17], s[4:5], 0x0
	v_lshl_or_b32 v1, s6, 8, v0
	v_lshrrev_b32_e32 v15, 4, v1
	s_waitcnt lgkmcnt(0)
	v_cmp_gt_i32_e32 vcc, s16, v15
	s_and_saveexec_b64 s[0:1], vcc
	s_cbranch_execz .LBB41_31
; %bb.1:
	s_load_dwordx2 s[0:1], s[4:5], 0x18
	v_lshlrev_b32_e32 v1, 3, v15
	v_mov_b32_e32 v16, 3
	s_mov_b64 s[10:11], -1
	s_mov_b64 s[8:9], 0
	s_waitcnt lgkmcnt(0)
	global_load_dwordx4 v[5:8], v1, s[0:1]
	s_load_dwordx2 s[0:1], s[0:1], 0x0
	s_waitcnt lgkmcnt(0)
	v_mov_b32_e32 v4, s1
	s_waitcnt vmcnt(0)
	v_subrev_co_u32_e32 v1, vcc, s0, v5
	v_subb_co_u32_e32 v2, vcc, v6, v4, vcc
	v_subrev_co_u32_e32 v3, vcc, s0, v7
	v_subb_co_u32_e32 v4, vcc, v8, v4, vcc
	v_cmp_gt_i64_e64 s[0:1], 0, v[3:4]
	v_cmp_lt_i64_e64 s[2:3], v[7:8], v[5:6]
	v_cmp_lt_i64_e32 vcc, -1, v[1:2]
	s_or_b64 s[0:1], s[0:1], s[2:3]
	s_xor_b64 s[0:1], s[0:1], -1
	s_and_b64 s[0:1], vcc, s[0:1]
	s_and_saveexec_b64 s[6:7], s[0:1]
	s_cbranch_execz .LBB41_29
; %bb.2:
	v_and_b32_e32 v0, 15, v0
	v_add_co_u32_e32 v5, vcc, v1, v0
	v_addc_co_u32_e32 v6, vcc, 0, v2, vcc
	v_cmp_lt_u64_e32 vcc, v[5:6], v[3:4]
	v_mov_b32_e32 v16, 3
	s_and_saveexec_b64 s[18:19], vcc
	s_cbranch_execz .LBB41_28
; %bb.3:
	s_load_dwordx8 s[8:15], s[4:5], 0x20
	s_load_dwordx2 s[0:1], s[4:5], 0x10
	v_lshlrev_b64 v[11:12], 2, v[5:6]
	v_lshlrev_b64 v[9:10], 3, v[5:6]
                                        ; implicit-def: $sgpr24_sgpr25
                                        ; implicit-def: $sgpr26_sgpr27
                                        ; implicit-def: $sgpr28_sgpr29
	s_waitcnt lgkmcnt(0)
	v_mov_b32_e32 v0, s11
	v_add_co_u32_e32 v7, vcc, s10, v11
	v_addc_co_u32_e32 v0, vcc, v0, v12, vcc
	v_add_co_u32_e32 v7, vcc, -4, v7
	v_addc_co_u32_e32 v8, vcc, -1, v0, vcc
	s_cmp_lg_u32 s13, 0
	v_mov_b32_e32 v0, s1
	v_add_co_u32_e32 v9, vcc, s0, v9
	s_cselect_b64 s[20:21], -1, 0
	s_cmp_lg_u32 s14, 0
	v_addc_co_u32_e32 v10, vcc, v0, v10, vcc
	s_cselect_b64 s[22:23], -1, 0
	s_cmp_lg_u32 s15, 0
	v_mov_b32_e32 v0, s9
	v_add_co_u32_e32 v11, vcc, s8, v11
	s_mov_b32 s10, 0
	s_cselect_b64 s[14:15], -1, 0
	v_addc_co_u32_e32 v12, vcc, v0, v12, vcc
	s_mov_b32 s11, 0x7ff00000
	s_mov_b64 s[8:9], 0
	s_branch .LBB41_10
.LBB41_4:                               ;   in Loop: Header=BB41_10 Depth=1
	s_or_b64 exec, exec, s[0:1]
	s_orn2_b64 s[44:45], s[2:3], exec
	s_orn2_b64 s[0:1], s[40:41], exec
.LBB41_5:                               ;   in Loop: Header=BB41_10 Depth=1
	s_or_b64 exec, exec, s[42:43]
	s_orn2_b64 s[2:3], s[44:45], exec
	s_orn2_b64 s[0:1], s[0:1], exec
.LBB41_6:                               ;   in Loop: Header=BB41_10 Depth=1
	s_or_b64 exec, exec, s[38:39]
	s_orn2_b64 s[2:3], s[2:3], exec
	s_orn2_b64 s[0:1], s[0:1], exec
.LBB41_7:                               ;   in Loop: Header=BB41_10 Depth=1
	s_or_b64 exec, exec, s[36:37]
	s_orn2_b64 s[2:3], s[2:3], exec
	s_orn2_b64 s[0:1], s[0:1], exec
.LBB41_8:                               ;   in Loop: Header=BB41_10 Depth=1
	s_or_b64 exec, exec, s[34:35]
	s_andn2_b64 s[28:29], s[28:29], exec
	s_and_b64 s[2:3], s[2:3], exec
	s_or_b64 s[28:29], s[28:29], s[2:3]
	s_andn2_b64 s[2:3], s[26:27], exec
	s_and_b64 s[0:1], s[0:1], exec
	s_or_b64 s[26:27], s[2:3], s[0:1]
.LBB41_9:                               ;   in Loop: Header=BB41_10 Depth=1
	s_or_b64 exec, exec, s[30:31]
	s_and_b64 s[0:1], exec, s[26:27]
	s_or_b64 s[8:9], s[0:1], s[8:9]
	s_andn2_b64 s[0:1], s[24:25], exec
	s_and_b64 s[2:3], s[28:29], exec
	s_or_b64 s[24:25], s[0:1], s[2:3]
	s_andn2_b64 exec, exec, s[8:9]
	s_cbranch_execz .LBB41_27
.LBB41_10:                              ; =>This Inner Loop Header: Depth=1
	global_load_dword v0, v[11:12], off
	v_mov_b32_e32 v16, 4
	s_or_b64 s[28:29], s[28:29], exec
	s_or_b64 s[26:27], s[26:27], exec
	s_waitcnt vmcnt(0)
	v_subrev_u32_e32 v17, s12, v0
	v_cmp_lt_i32_e32 vcc, -1, v17
	v_cmp_gt_i32_e64 s[0:1], s17, v17
	s_and_b64 s[0:1], vcc, s[0:1]
	s_and_saveexec_b64 s[30:31], s[0:1]
	s_cbranch_execz .LBB41_9
; %bb.11:                               ;   in Loop: Header=BB41_10 Depth=1
	v_cmp_le_i64_e64 s[40:41], v[5:6], v[1:2]
	v_cmp_gt_i64_e32 vcc, v[5:6], v[1:2]
	v_mov_b32_e32 v16, 4
	s_mov_b64 s[36:37], s[40:41]
	s_and_saveexec_b64 s[34:35], vcc
	s_cbranch_execz .LBB41_13
; %bb.12:                               ;   in Loop: Header=BB41_10 Depth=1
	global_load_dwordx2 v[13:14], v[7:8], off
	v_mov_b32_e32 v16, 5
	s_waitcnt vmcnt(0)
	v_subrev_u32_e32 v18, s12, v13
	v_cmp_lt_i32_e64 s[0:1], -1, v18
	v_cmp_gt_i32_e64 s[2:3], s17, v18
	s_and_b64 s[0:1], s[0:1], s[2:3]
	v_cmp_ne_u32_e32 vcc, v14, v13
	s_xor_b64 s[0:1], s[0:1], -1
	s_or_b64 s[0:1], vcc, s[0:1]
	s_andn2_b64 s[2:3], s[40:41], exec
	s_and_b64 s[0:1], s[0:1], exec
	s_or_b64 s[36:37], s[2:3], s[0:1]
.LBB41_13:                              ;   in Loop: Header=BB41_10 Depth=1
	s_or_b64 exec, exec, s[34:35]
	s_mov_b64 s[0:1], -1
	s_mov_b64 s[2:3], -1
	s_and_saveexec_b64 s[34:35], s[36:37]
	s_cbranch_execz .LBB41_8
; %bb.14:                               ;   in Loop: Header=BB41_10 Depth=1
	global_load_dwordx2 v[13:14], v[9:10], off
	v_mov_b32_e32 v16, 1
	s_waitcnt vmcnt(0)
	v_cmp_neq_f64_e32 vcc, s[10:11], v[13:14]
	s_and_saveexec_b64 s[36:37], vcc
	s_cbranch_execz .LBB41_7
; %bb.15:                               ;   in Loop: Header=BB41_10 Depth=1
	v_cmp_o_f64_e32 vcc, v[13:14], v[13:14]
	v_mov_b32_e32 v16, 2
	s_and_saveexec_b64 s[38:39], vcc
	s_cbranch_execz .LBB41_6
; %bb.16:                               ;   in Loop: Header=BB41_10 Depth=1
	s_and_b64 vcc, exec, s[20:21]
	s_cbranch_vccz .LBB41_19
; %bb.17:                               ;   in Loop: Header=BB41_10 Depth=1
	s_and_b64 vcc, exec, s[22:23]
	s_cbranch_vccz .LBB41_20
; %bb.18:                               ;   in Loop: Header=BB41_10 Depth=1
	v_cmp_le_i32_e32 vcc, v15, v17
	s_mov_b32 s13, 7
	s_and_b64 s[2:3], vcc, exec
	s_cbranch_execz .LBB41_21
	s_branch .LBB41_22
.LBB41_19:                              ;   in Loop: Header=BB41_10 Depth=1
	s_mov_b32 s13, 2
	s_branch .LBB41_22
.LBB41_20:                              ;   in Loop: Header=BB41_10 Depth=1
	s_mov_b64 s[2:3], 0
	s_mov_b32 s13, 2
.LBB41_21:                              ;   in Loop: Header=BB41_10 Depth=1
	v_cmp_ge_i32_e32 vcc, v15, v17
	s_andn2_b64 s[2:3], s[2:3], exec
	s_and_b64 s[42:43], vcc, exec
	s_mov_b32 s13, 7
	s_or_b64 s[2:3], s[2:3], s[42:43]
.LBB41_22:                              ;   in Loop: Header=BB41_10 Depth=1
	v_mov_b32_e32 v16, s13
	s_mov_b64 s[44:45], -1
	s_and_saveexec_b64 s[42:43], s[2:3]
	s_cbranch_execz .LBB41_5
; %bb.23:                               ;   in Loop: Header=BB41_10 Depth=1
	s_nor_b64 s[0:1], s[14:15], s[40:41]
	s_mov_b64 s[40:41], -1
	v_mov_b32_e32 v16, s13
	s_and_saveexec_b64 s[46:47], s[0:1]
	s_cbranch_execz .LBB41_25
; %bb.24:                               ;   in Loop: Header=BB41_10 Depth=1
	global_load_dword v13, v[11:12], off offset:-4
	v_mov_b32_e32 v16, 6
	s_waitcnt vmcnt(0)
	v_subrev_u32_e32 v14, s12, v13
	v_cmp_lt_i32_e64 s[0:1], -1, v14
	v_cmp_gt_i32_e64 s[2:3], s17, v14
	s_and_b64 s[0:1], s[0:1], s[2:3]
	v_cmp_gt_i32_e32 vcc, v0, v13
	s_xor_b64 s[0:1], s[0:1], -1
	s_or_b64 s[0:1], vcc, s[0:1]
	s_orn2_b64 s[44:45], s[0:1], exec
.LBB41_25:                              ;   in Loop: Header=BB41_10 Depth=1
	s_or_b64 exec, exec, s[46:47]
	s_mov_b64 s[2:3], -1
	s_and_saveexec_b64 s[0:1], s[44:45]
	s_cbranch_execz .LBB41_4
; %bb.26:                               ;   in Loop: Header=BB41_10 Depth=1
	v_add_co_u32_e32 v5, vcc, 16, v5
	v_addc_co_u32_e32 v6, vcc, 0, v6, vcc
	v_add_co_u32_e32 v7, vcc, 64, v7
	v_addc_co_u32_e32 v8, vcc, 0, v8, vcc
	;; [unrolled: 2-line block ×4, first 2 shown]
	v_cmp_ge_i64_e32 vcc, v[5:6], v[3:4]
	s_xor_b64 s[2:3], exec, -1
	s_orn2_b64 s[40:41], vcc, exec
	s_branch .LBB41_4
.LBB41_27:
	s_or_b64 exec, exec, s[8:9]
	s_and_b64 s[8:9], s[24:25], exec
.LBB41_28:
	s_or_b64 exec, exec, s[18:19]
	s_orn2_b64 s[10:11], s[8:9], exec
.LBB41_29:
	s_or_b64 exec, exec, s[6:7]
	s_and_b64 exec, exec, s[10:11]
	s_cbranch_execz .LBB41_31
; %bb.30:
	s_load_dwordx2 s[0:1], s[4:5], 0x40
	v_mov_b32_e32 v0, 0
	s_waitcnt lgkmcnt(0)
	global_store_dword v0, v16, s[0:1]
.LBB41_31:
	s_endpgm
	.section	.rodata,"a",@progbits
	.p2align	6, 0x0
	.amdhsa_kernel _ZN9rocsparseL23check_matrix_csr_deviceILj256ELj16EdliEEvT3_S1_T2_PKT1_PKS2_PKS1_S9_21rocsparse_index_base_22rocsparse_matrix_type_20rocsparse_fill_mode_23rocsparse_storage_mode_P22rocsparse_data_status_
		.amdhsa_group_segment_fixed_size 0
		.amdhsa_private_segment_fixed_size 0
		.amdhsa_kernarg_size 72
		.amdhsa_user_sgpr_count 6
		.amdhsa_user_sgpr_private_segment_buffer 1
		.amdhsa_user_sgpr_dispatch_ptr 0
		.amdhsa_user_sgpr_queue_ptr 0
		.amdhsa_user_sgpr_kernarg_segment_ptr 1
		.amdhsa_user_sgpr_dispatch_id 0
		.amdhsa_user_sgpr_flat_scratch_init 0
		.amdhsa_user_sgpr_private_segment_size 0
		.amdhsa_uses_dynamic_stack 0
		.amdhsa_system_sgpr_private_segment_wavefront_offset 0
		.amdhsa_system_sgpr_workgroup_id_x 1
		.amdhsa_system_sgpr_workgroup_id_y 0
		.amdhsa_system_sgpr_workgroup_id_z 0
		.amdhsa_system_sgpr_workgroup_info 0
		.amdhsa_system_vgpr_workitem_id 0
		.amdhsa_next_free_vgpr 19
		.amdhsa_next_free_sgpr 48
		.amdhsa_reserve_vcc 1
		.amdhsa_reserve_flat_scratch 0
		.amdhsa_float_round_mode_32 0
		.amdhsa_float_round_mode_16_64 0
		.amdhsa_float_denorm_mode_32 3
		.amdhsa_float_denorm_mode_16_64 3
		.amdhsa_dx10_clamp 1
		.amdhsa_ieee_mode 1
		.amdhsa_fp16_overflow 0
		.amdhsa_exception_fp_ieee_invalid_op 0
		.amdhsa_exception_fp_denorm_src 0
		.amdhsa_exception_fp_ieee_div_zero 0
		.amdhsa_exception_fp_ieee_overflow 0
		.amdhsa_exception_fp_ieee_underflow 0
		.amdhsa_exception_fp_ieee_inexact 0
		.amdhsa_exception_int_div_zero 0
	.end_amdhsa_kernel
	.section	.text._ZN9rocsparseL23check_matrix_csr_deviceILj256ELj16EdliEEvT3_S1_T2_PKT1_PKS2_PKS1_S9_21rocsparse_index_base_22rocsparse_matrix_type_20rocsparse_fill_mode_23rocsparse_storage_mode_P22rocsparse_data_status_,"axG",@progbits,_ZN9rocsparseL23check_matrix_csr_deviceILj256ELj16EdliEEvT3_S1_T2_PKT1_PKS2_PKS1_S9_21rocsparse_index_base_22rocsparse_matrix_type_20rocsparse_fill_mode_23rocsparse_storage_mode_P22rocsparse_data_status_,comdat
.Lfunc_end41:
	.size	_ZN9rocsparseL23check_matrix_csr_deviceILj256ELj16EdliEEvT3_S1_T2_PKT1_PKS2_PKS1_S9_21rocsparse_index_base_22rocsparse_matrix_type_20rocsparse_fill_mode_23rocsparse_storage_mode_P22rocsparse_data_status_, .Lfunc_end41-_ZN9rocsparseL23check_matrix_csr_deviceILj256ELj16EdliEEvT3_S1_T2_PKT1_PKS2_PKS1_S9_21rocsparse_index_base_22rocsparse_matrix_type_20rocsparse_fill_mode_23rocsparse_storage_mode_P22rocsparse_data_status_
                                        ; -- End function
	.set _ZN9rocsparseL23check_matrix_csr_deviceILj256ELj16EdliEEvT3_S1_T2_PKT1_PKS2_PKS1_S9_21rocsparse_index_base_22rocsparse_matrix_type_20rocsparse_fill_mode_23rocsparse_storage_mode_P22rocsparse_data_status_.num_vgpr, 19
	.set _ZN9rocsparseL23check_matrix_csr_deviceILj256ELj16EdliEEvT3_S1_T2_PKT1_PKS2_PKS1_S9_21rocsparse_index_base_22rocsparse_matrix_type_20rocsparse_fill_mode_23rocsparse_storage_mode_P22rocsparse_data_status_.num_agpr, 0
	.set _ZN9rocsparseL23check_matrix_csr_deviceILj256ELj16EdliEEvT3_S1_T2_PKT1_PKS2_PKS1_S9_21rocsparse_index_base_22rocsparse_matrix_type_20rocsparse_fill_mode_23rocsparse_storage_mode_P22rocsparse_data_status_.numbered_sgpr, 48
	.set _ZN9rocsparseL23check_matrix_csr_deviceILj256ELj16EdliEEvT3_S1_T2_PKT1_PKS2_PKS1_S9_21rocsparse_index_base_22rocsparse_matrix_type_20rocsparse_fill_mode_23rocsparse_storage_mode_P22rocsparse_data_status_.num_named_barrier, 0
	.set _ZN9rocsparseL23check_matrix_csr_deviceILj256ELj16EdliEEvT3_S1_T2_PKT1_PKS2_PKS1_S9_21rocsparse_index_base_22rocsparse_matrix_type_20rocsparse_fill_mode_23rocsparse_storage_mode_P22rocsparse_data_status_.private_seg_size, 0
	.set _ZN9rocsparseL23check_matrix_csr_deviceILj256ELj16EdliEEvT3_S1_T2_PKT1_PKS2_PKS1_S9_21rocsparse_index_base_22rocsparse_matrix_type_20rocsparse_fill_mode_23rocsparse_storage_mode_P22rocsparse_data_status_.uses_vcc, 1
	.set _ZN9rocsparseL23check_matrix_csr_deviceILj256ELj16EdliEEvT3_S1_T2_PKT1_PKS2_PKS1_S9_21rocsparse_index_base_22rocsparse_matrix_type_20rocsparse_fill_mode_23rocsparse_storage_mode_P22rocsparse_data_status_.uses_flat_scratch, 0
	.set _ZN9rocsparseL23check_matrix_csr_deviceILj256ELj16EdliEEvT3_S1_T2_PKT1_PKS2_PKS1_S9_21rocsparse_index_base_22rocsparse_matrix_type_20rocsparse_fill_mode_23rocsparse_storage_mode_P22rocsparse_data_status_.has_dyn_sized_stack, 0
	.set _ZN9rocsparseL23check_matrix_csr_deviceILj256ELj16EdliEEvT3_S1_T2_PKT1_PKS2_PKS1_S9_21rocsparse_index_base_22rocsparse_matrix_type_20rocsparse_fill_mode_23rocsparse_storage_mode_P22rocsparse_data_status_.has_recursion, 0
	.set _ZN9rocsparseL23check_matrix_csr_deviceILj256ELj16EdliEEvT3_S1_T2_PKT1_PKS2_PKS1_S9_21rocsparse_index_base_22rocsparse_matrix_type_20rocsparse_fill_mode_23rocsparse_storage_mode_P22rocsparse_data_status_.has_indirect_call, 0
	.section	.AMDGPU.csdata,"",@progbits
; Kernel info:
; codeLenInByte = 904
; TotalNumSgprs: 52
; NumVgprs: 19
; ScratchSize: 0
; MemoryBound: 0
; FloatMode: 240
; IeeeMode: 1
; LDSByteSize: 0 bytes/workgroup (compile time only)
; SGPRBlocks: 6
; VGPRBlocks: 4
; NumSGPRsForWavesPerEU: 52
; NumVGPRsForWavesPerEU: 19
; Occupancy: 10
; WaveLimiterHint : 0
; COMPUTE_PGM_RSRC2:SCRATCH_EN: 0
; COMPUTE_PGM_RSRC2:USER_SGPR: 6
; COMPUTE_PGM_RSRC2:TRAP_HANDLER: 0
; COMPUTE_PGM_RSRC2:TGID_X_EN: 1
; COMPUTE_PGM_RSRC2:TGID_Y_EN: 0
; COMPUTE_PGM_RSRC2:TGID_Z_EN: 0
; COMPUTE_PGM_RSRC2:TIDIG_COMP_CNT: 0
	.section	.text._ZN9rocsparseL23check_matrix_csr_deviceILj256ELj32EdliEEvT3_S1_T2_PKT1_PKS2_PKS1_S9_21rocsparse_index_base_22rocsparse_matrix_type_20rocsparse_fill_mode_23rocsparse_storage_mode_P22rocsparse_data_status_,"axG",@progbits,_ZN9rocsparseL23check_matrix_csr_deviceILj256ELj32EdliEEvT3_S1_T2_PKT1_PKS2_PKS1_S9_21rocsparse_index_base_22rocsparse_matrix_type_20rocsparse_fill_mode_23rocsparse_storage_mode_P22rocsparse_data_status_,comdat
	.globl	_ZN9rocsparseL23check_matrix_csr_deviceILj256ELj32EdliEEvT3_S1_T2_PKT1_PKS2_PKS1_S9_21rocsparse_index_base_22rocsparse_matrix_type_20rocsparse_fill_mode_23rocsparse_storage_mode_P22rocsparse_data_status_ ; -- Begin function _ZN9rocsparseL23check_matrix_csr_deviceILj256ELj32EdliEEvT3_S1_T2_PKT1_PKS2_PKS1_S9_21rocsparse_index_base_22rocsparse_matrix_type_20rocsparse_fill_mode_23rocsparse_storage_mode_P22rocsparse_data_status_
	.p2align	8
	.type	_ZN9rocsparseL23check_matrix_csr_deviceILj256ELj32EdliEEvT3_S1_T2_PKT1_PKS2_PKS1_S9_21rocsparse_index_base_22rocsparse_matrix_type_20rocsparse_fill_mode_23rocsparse_storage_mode_P22rocsparse_data_status_,@function
_ZN9rocsparseL23check_matrix_csr_deviceILj256ELj32EdliEEvT3_S1_T2_PKT1_PKS2_PKS1_S9_21rocsparse_index_base_22rocsparse_matrix_type_20rocsparse_fill_mode_23rocsparse_storage_mode_P22rocsparse_data_status_: ; @_ZN9rocsparseL23check_matrix_csr_deviceILj256ELj32EdliEEvT3_S1_T2_PKT1_PKS2_PKS1_S9_21rocsparse_index_base_22rocsparse_matrix_type_20rocsparse_fill_mode_23rocsparse_storage_mode_P22rocsparse_data_status_
; %bb.0:
	s_load_dwordx2 s[16:17], s[4:5], 0x0
	v_lshl_or_b32 v1, s6, 8, v0
	v_lshrrev_b32_e32 v15, 5, v1
	s_waitcnt lgkmcnt(0)
	v_cmp_gt_i32_e32 vcc, s16, v15
	s_and_saveexec_b64 s[0:1], vcc
	s_cbranch_execz .LBB42_31
; %bb.1:
	s_load_dwordx2 s[0:1], s[4:5], 0x18
	v_lshlrev_b32_e32 v1, 3, v15
	v_mov_b32_e32 v16, 3
	s_mov_b64 s[10:11], -1
	s_mov_b64 s[8:9], 0
	s_waitcnt lgkmcnt(0)
	global_load_dwordx4 v[5:8], v1, s[0:1]
	s_load_dwordx2 s[0:1], s[0:1], 0x0
	s_waitcnt lgkmcnt(0)
	v_mov_b32_e32 v4, s1
	s_waitcnt vmcnt(0)
	v_subrev_co_u32_e32 v1, vcc, s0, v5
	v_subb_co_u32_e32 v2, vcc, v6, v4, vcc
	v_subrev_co_u32_e32 v3, vcc, s0, v7
	v_subb_co_u32_e32 v4, vcc, v8, v4, vcc
	v_cmp_gt_i64_e64 s[0:1], 0, v[3:4]
	v_cmp_lt_i64_e64 s[2:3], v[7:8], v[5:6]
	v_cmp_lt_i64_e32 vcc, -1, v[1:2]
	s_or_b64 s[0:1], s[0:1], s[2:3]
	s_xor_b64 s[0:1], s[0:1], -1
	s_and_b64 s[0:1], vcc, s[0:1]
	s_and_saveexec_b64 s[6:7], s[0:1]
	s_cbranch_execz .LBB42_29
; %bb.2:
	v_and_b32_e32 v0, 31, v0
	v_add_co_u32_e32 v5, vcc, v1, v0
	v_addc_co_u32_e32 v6, vcc, 0, v2, vcc
	v_cmp_lt_u64_e32 vcc, v[5:6], v[3:4]
	v_mov_b32_e32 v16, 3
	s_and_saveexec_b64 s[18:19], vcc
	s_cbranch_execz .LBB42_28
; %bb.3:
	s_load_dwordx8 s[8:15], s[4:5], 0x20
	s_load_dwordx2 s[0:1], s[4:5], 0x10
	v_lshlrev_b64 v[11:12], 2, v[5:6]
	v_lshlrev_b64 v[9:10], 3, v[5:6]
                                        ; implicit-def: $sgpr24_sgpr25
                                        ; implicit-def: $sgpr26_sgpr27
                                        ; implicit-def: $sgpr28_sgpr29
	s_waitcnt lgkmcnt(0)
	v_mov_b32_e32 v0, s11
	v_add_co_u32_e32 v7, vcc, s10, v11
	v_addc_co_u32_e32 v0, vcc, v0, v12, vcc
	v_add_co_u32_e32 v7, vcc, -4, v7
	v_addc_co_u32_e32 v8, vcc, -1, v0, vcc
	s_cmp_lg_u32 s13, 0
	v_mov_b32_e32 v0, s1
	v_add_co_u32_e32 v9, vcc, s0, v9
	s_cselect_b64 s[20:21], -1, 0
	s_cmp_lg_u32 s14, 0
	v_addc_co_u32_e32 v10, vcc, v0, v10, vcc
	s_cselect_b64 s[22:23], -1, 0
	s_cmp_lg_u32 s15, 0
	v_mov_b32_e32 v0, s9
	v_add_co_u32_e32 v11, vcc, s8, v11
	s_mov_b32 s10, 0
	s_cselect_b64 s[14:15], -1, 0
	v_addc_co_u32_e32 v12, vcc, v0, v12, vcc
	s_mov_b32 s11, 0x7ff00000
	s_mov_b64 s[8:9], 0
	s_branch .LBB42_10
.LBB42_4:                               ;   in Loop: Header=BB42_10 Depth=1
	s_or_b64 exec, exec, s[0:1]
	s_orn2_b64 s[44:45], s[2:3], exec
	s_orn2_b64 s[0:1], s[40:41], exec
.LBB42_5:                               ;   in Loop: Header=BB42_10 Depth=1
	s_or_b64 exec, exec, s[42:43]
	s_orn2_b64 s[2:3], s[44:45], exec
	s_orn2_b64 s[0:1], s[0:1], exec
.LBB42_6:                               ;   in Loop: Header=BB42_10 Depth=1
	s_or_b64 exec, exec, s[38:39]
	s_orn2_b64 s[2:3], s[2:3], exec
	s_orn2_b64 s[0:1], s[0:1], exec
.LBB42_7:                               ;   in Loop: Header=BB42_10 Depth=1
	s_or_b64 exec, exec, s[36:37]
	s_orn2_b64 s[2:3], s[2:3], exec
	s_orn2_b64 s[0:1], s[0:1], exec
.LBB42_8:                               ;   in Loop: Header=BB42_10 Depth=1
	s_or_b64 exec, exec, s[34:35]
	s_andn2_b64 s[28:29], s[28:29], exec
	s_and_b64 s[2:3], s[2:3], exec
	s_or_b64 s[28:29], s[28:29], s[2:3]
	s_andn2_b64 s[2:3], s[26:27], exec
	s_and_b64 s[0:1], s[0:1], exec
	s_or_b64 s[26:27], s[2:3], s[0:1]
.LBB42_9:                               ;   in Loop: Header=BB42_10 Depth=1
	s_or_b64 exec, exec, s[30:31]
	s_and_b64 s[0:1], exec, s[26:27]
	s_or_b64 s[8:9], s[0:1], s[8:9]
	s_andn2_b64 s[0:1], s[24:25], exec
	s_and_b64 s[2:3], s[28:29], exec
	s_or_b64 s[24:25], s[0:1], s[2:3]
	s_andn2_b64 exec, exec, s[8:9]
	s_cbranch_execz .LBB42_27
.LBB42_10:                              ; =>This Inner Loop Header: Depth=1
	global_load_dword v0, v[11:12], off
	v_mov_b32_e32 v16, 4
	s_or_b64 s[28:29], s[28:29], exec
	s_or_b64 s[26:27], s[26:27], exec
	s_waitcnt vmcnt(0)
	v_subrev_u32_e32 v17, s12, v0
	v_cmp_lt_i32_e32 vcc, -1, v17
	v_cmp_gt_i32_e64 s[0:1], s17, v17
	s_and_b64 s[0:1], vcc, s[0:1]
	s_and_saveexec_b64 s[30:31], s[0:1]
	s_cbranch_execz .LBB42_9
; %bb.11:                               ;   in Loop: Header=BB42_10 Depth=1
	v_cmp_le_i64_e64 s[40:41], v[5:6], v[1:2]
	v_cmp_gt_i64_e32 vcc, v[5:6], v[1:2]
	v_mov_b32_e32 v16, 4
	s_mov_b64 s[36:37], s[40:41]
	s_and_saveexec_b64 s[34:35], vcc
	s_cbranch_execz .LBB42_13
; %bb.12:                               ;   in Loop: Header=BB42_10 Depth=1
	global_load_dwordx2 v[13:14], v[7:8], off
	v_mov_b32_e32 v16, 5
	s_waitcnt vmcnt(0)
	v_subrev_u32_e32 v18, s12, v13
	v_cmp_lt_i32_e64 s[0:1], -1, v18
	v_cmp_gt_i32_e64 s[2:3], s17, v18
	s_and_b64 s[0:1], s[0:1], s[2:3]
	v_cmp_ne_u32_e32 vcc, v14, v13
	s_xor_b64 s[0:1], s[0:1], -1
	s_or_b64 s[0:1], vcc, s[0:1]
	s_andn2_b64 s[2:3], s[40:41], exec
	s_and_b64 s[0:1], s[0:1], exec
	s_or_b64 s[36:37], s[2:3], s[0:1]
.LBB42_13:                              ;   in Loop: Header=BB42_10 Depth=1
	s_or_b64 exec, exec, s[34:35]
	s_mov_b64 s[0:1], -1
	s_mov_b64 s[2:3], -1
	s_and_saveexec_b64 s[34:35], s[36:37]
	s_cbranch_execz .LBB42_8
; %bb.14:                               ;   in Loop: Header=BB42_10 Depth=1
	global_load_dwordx2 v[13:14], v[9:10], off
	v_mov_b32_e32 v16, 1
	s_waitcnt vmcnt(0)
	v_cmp_neq_f64_e32 vcc, s[10:11], v[13:14]
	s_and_saveexec_b64 s[36:37], vcc
	s_cbranch_execz .LBB42_7
; %bb.15:                               ;   in Loop: Header=BB42_10 Depth=1
	v_cmp_o_f64_e32 vcc, v[13:14], v[13:14]
	v_mov_b32_e32 v16, 2
	s_and_saveexec_b64 s[38:39], vcc
	s_cbranch_execz .LBB42_6
; %bb.16:                               ;   in Loop: Header=BB42_10 Depth=1
	s_and_b64 vcc, exec, s[20:21]
	s_cbranch_vccz .LBB42_19
; %bb.17:                               ;   in Loop: Header=BB42_10 Depth=1
	s_and_b64 vcc, exec, s[22:23]
	s_cbranch_vccz .LBB42_20
; %bb.18:                               ;   in Loop: Header=BB42_10 Depth=1
	v_cmp_le_i32_e32 vcc, v15, v17
	s_mov_b32 s13, 7
	s_and_b64 s[2:3], vcc, exec
	s_cbranch_execz .LBB42_21
	s_branch .LBB42_22
.LBB42_19:                              ;   in Loop: Header=BB42_10 Depth=1
	s_mov_b32 s13, 2
	s_branch .LBB42_22
.LBB42_20:                              ;   in Loop: Header=BB42_10 Depth=1
	s_mov_b64 s[2:3], 0
	s_mov_b32 s13, 2
.LBB42_21:                              ;   in Loop: Header=BB42_10 Depth=1
	v_cmp_ge_i32_e32 vcc, v15, v17
	s_andn2_b64 s[2:3], s[2:3], exec
	s_and_b64 s[42:43], vcc, exec
	s_mov_b32 s13, 7
	s_or_b64 s[2:3], s[2:3], s[42:43]
.LBB42_22:                              ;   in Loop: Header=BB42_10 Depth=1
	v_mov_b32_e32 v16, s13
	s_mov_b64 s[44:45], -1
	s_and_saveexec_b64 s[42:43], s[2:3]
	s_cbranch_execz .LBB42_5
; %bb.23:                               ;   in Loop: Header=BB42_10 Depth=1
	s_nor_b64 s[0:1], s[14:15], s[40:41]
	s_mov_b64 s[40:41], -1
	v_mov_b32_e32 v16, s13
	s_and_saveexec_b64 s[46:47], s[0:1]
	s_cbranch_execz .LBB42_25
; %bb.24:                               ;   in Loop: Header=BB42_10 Depth=1
	global_load_dword v13, v[11:12], off offset:-4
	v_mov_b32_e32 v16, 6
	s_waitcnt vmcnt(0)
	v_subrev_u32_e32 v14, s12, v13
	v_cmp_lt_i32_e64 s[0:1], -1, v14
	v_cmp_gt_i32_e64 s[2:3], s17, v14
	s_and_b64 s[0:1], s[0:1], s[2:3]
	v_cmp_gt_i32_e32 vcc, v0, v13
	s_xor_b64 s[0:1], s[0:1], -1
	s_or_b64 s[0:1], vcc, s[0:1]
	s_orn2_b64 s[44:45], s[0:1], exec
.LBB42_25:                              ;   in Loop: Header=BB42_10 Depth=1
	s_or_b64 exec, exec, s[46:47]
	s_mov_b64 s[2:3], -1
	s_and_saveexec_b64 s[0:1], s[44:45]
	s_cbranch_execz .LBB42_4
; %bb.26:                               ;   in Loop: Header=BB42_10 Depth=1
	v_add_co_u32_e32 v5, vcc, 32, v5
	v_addc_co_u32_e32 v6, vcc, 0, v6, vcc
	v_add_co_u32_e32 v7, vcc, 0x80, v7
	v_addc_co_u32_e32 v8, vcc, 0, v8, vcc
	;; [unrolled: 2-line block ×4, first 2 shown]
	v_cmp_ge_i64_e32 vcc, v[5:6], v[3:4]
	s_xor_b64 s[2:3], exec, -1
	s_orn2_b64 s[40:41], vcc, exec
	s_branch .LBB42_4
.LBB42_27:
	s_or_b64 exec, exec, s[8:9]
	s_and_b64 s[8:9], s[24:25], exec
.LBB42_28:
	s_or_b64 exec, exec, s[18:19]
	s_orn2_b64 s[10:11], s[8:9], exec
.LBB42_29:
	s_or_b64 exec, exec, s[6:7]
	s_and_b64 exec, exec, s[10:11]
	s_cbranch_execz .LBB42_31
; %bb.30:
	s_load_dwordx2 s[0:1], s[4:5], 0x40
	v_mov_b32_e32 v0, 0
	s_waitcnt lgkmcnt(0)
	global_store_dword v0, v16, s[0:1]
.LBB42_31:
	s_endpgm
	.section	.rodata,"a",@progbits
	.p2align	6, 0x0
	.amdhsa_kernel _ZN9rocsparseL23check_matrix_csr_deviceILj256ELj32EdliEEvT3_S1_T2_PKT1_PKS2_PKS1_S9_21rocsparse_index_base_22rocsparse_matrix_type_20rocsparse_fill_mode_23rocsparse_storage_mode_P22rocsparse_data_status_
		.amdhsa_group_segment_fixed_size 0
		.amdhsa_private_segment_fixed_size 0
		.amdhsa_kernarg_size 72
		.amdhsa_user_sgpr_count 6
		.amdhsa_user_sgpr_private_segment_buffer 1
		.amdhsa_user_sgpr_dispatch_ptr 0
		.amdhsa_user_sgpr_queue_ptr 0
		.amdhsa_user_sgpr_kernarg_segment_ptr 1
		.amdhsa_user_sgpr_dispatch_id 0
		.amdhsa_user_sgpr_flat_scratch_init 0
		.amdhsa_user_sgpr_private_segment_size 0
		.amdhsa_uses_dynamic_stack 0
		.amdhsa_system_sgpr_private_segment_wavefront_offset 0
		.amdhsa_system_sgpr_workgroup_id_x 1
		.amdhsa_system_sgpr_workgroup_id_y 0
		.amdhsa_system_sgpr_workgroup_id_z 0
		.amdhsa_system_sgpr_workgroup_info 0
		.amdhsa_system_vgpr_workitem_id 0
		.amdhsa_next_free_vgpr 19
		.amdhsa_next_free_sgpr 48
		.amdhsa_reserve_vcc 1
		.amdhsa_reserve_flat_scratch 0
		.amdhsa_float_round_mode_32 0
		.amdhsa_float_round_mode_16_64 0
		.amdhsa_float_denorm_mode_32 3
		.amdhsa_float_denorm_mode_16_64 3
		.amdhsa_dx10_clamp 1
		.amdhsa_ieee_mode 1
		.amdhsa_fp16_overflow 0
		.amdhsa_exception_fp_ieee_invalid_op 0
		.amdhsa_exception_fp_denorm_src 0
		.amdhsa_exception_fp_ieee_div_zero 0
		.amdhsa_exception_fp_ieee_overflow 0
		.amdhsa_exception_fp_ieee_underflow 0
		.amdhsa_exception_fp_ieee_inexact 0
		.amdhsa_exception_int_div_zero 0
	.end_amdhsa_kernel
	.section	.text._ZN9rocsparseL23check_matrix_csr_deviceILj256ELj32EdliEEvT3_S1_T2_PKT1_PKS2_PKS1_S9_21rocsparse_index_base_22rocsparse_matrix_type_20rocsparse_fill_mode_23rocsparse_storage_mode_P22rocsparse_data_status_,"axG",@progbits,_ZN9rocsparseL23check_matrix_csr_deviceILj256ELj32EdliEEvT3_S1_T2_PKT1_PKS2_PKS1_S9_21rocsparse_index_base_22rocsparse_matrix_type_20rocsparse_fill_mode_23rocsparse_storage_mode_P22rocsparse_data_status_,comdat
.Lfunc_end42:
	.size	_ZN9rocsparseL23check_matrix_csr_deviceILj256ELj32EdliEEvT3_S1_T2_PKT1_PKS2_PKS1_S9_21rocsparse_index_base_22rocsparse_matrix_type_20rocsparse_fill_mode_23rocsparse_storage_mode_P22rocsparse_data_status_, .Lfunc_end42-_ZN9rocsparseL23check_matrix_csr_deviceILj256ELj32EdliEEvT3_S1_T2_PKT1_PKS2_PKS1_S9_21rocsparse_index_base_22rocsparse_matrix_type_20rocsparse_fill_mode_23rocsparse_storage_mode_P22rocsparse_data_status_
                                        ; -- End function
	.set _ZN9rocsparseL23check_matrix_csr_deviceILj256ELj32EdliEEvT3_S1_T2_PKT1_PKS2_PKS1_S9_21rocsparse_index_base_22rocsparse_matrix_type_20rocsparse_fill_mode_23rocsparse_storage_mode_P22rocsparse_data_status_.num_vgpr, 19
	.set _ZN9rocsparseL23check_matrix_csr_deviceILj256ELj32EdliEEvT3_S1_T2_PKT1_PKS2_PKS1_S9_21rocsparse_index_base_22rocsparse_matrix_type_20rocsparse_fill_mode_23rocsparse_storage_mode_P22rocsparse_data_status_.num_agpr, 0
	.set _ZN9rocsparseL23check_matrix_csr_deviceILj256ELj32EdliEEvT3_S1_T2_PKT1_PKS2_PKS1_S9_21rocsparse_index_base_22rocsparse_matrix_type_20rocsparse_fill_mode_23rocsparse_storage_mode_P22rocsparse_data_status_.numbered_sgpr, 48
	.set _ZN9rocsparseL23check_matrix_csr_deviceILj256ELj32EdliEEvT3_S1_T2_PKT1_PKS2_PKS1_S9_21rocsparse_index_base_22rocsparse_matrix_type_20rocsparse_fill_mode_23rocsparse_storage_mode_P22rocsparse_data_status_.num_named_barrier, 0
	.set _ZN9rocsparseL23check_matrix_csr_deviceILj256ELj32EdliEEvT3_S1_T2_PKT1_PKS2_PKS1_S9_21rocsparse_index_base_22rocsparse_matrix_type_20rocsparse_fill_mode_23rocsparse_storage_mode_P22rocsparse_data_status_.private_seg_size, 0
	.set _ZN9rocsparseL23check_matrix_csr_deviceILj256ELj32EdliEEvT3_S1_T2_PKT1_PKS2_PKS1_S9_21rocsparse_index_base_22rocsparse_matrix_type_20rocsparse_fill_mode_23rocsparse_storage_mode_P22rocsparse_data_status_.uses_vcc, 1
	.set _ZN9rocsparseL23check_matrix_csr_deviceILj256ELj32EdliEEvT3_S1_T2_PKT1_PKS2_PKS1_S9_21rocsparse_index_base_22rocsparse_matrix_type_20rocsparse_fill_mode_23rocsparse_storage_mode_P22rocsparse_data_status_.uses_flat_scratch, 0
	.set _ZN9rocsparseL23check_matrix_csr_deviceILj256ELj32EdliEEvT3_S1_T2_PKT1_PKS2_PKS1_S9_21rocsparse_index_base_22rocsparse_matrix_type_20rocsparse_fill_mode_23rocsparse_storage_mode_P22rocsparse_data_status_.has_dyn_sized_stack, 0
	.set _ZN9rocsparseL23check_matrix_csr_deviceILj256ELj32EdliEEvT3_S1_T2_PKT1_PKS2_PKS1_S9_21rocsparse_index_base_22rocsparse_matrix_type_20rocsparse_fill_mode_23rocsparse_storage_mode_P22rocsparse_data_status_.has_recursion, 0
	.set _ZN9rocsparseL23check_matrix_csr_deviceILj256ELj32EdliEEvT3_S1_T2_PKT1_PKS2_PKS1_S9_21rocsparse_index_base_22rocsparse_matrix_type_20rocsparse_fill_mode_23rocsparse_storage_mode_P22rocsparse_data_status_.has_indirect_call, 0
	.section	.AMDGPU.csdata,"",@progbits
; Kernel info:
; codeLenInByte = 912
; TotalNumSgprs: 52
; NumVgprs: 19
; ScratchSize: 0
; MemoryBound: 0
; FloatMode: 240
; IeeeMode: 1
; LDSByteSize: 0 bytes/workgroup (compile time only)
; SGPRBlocks: 6
; VGPRBlocks: 4
; NumSGPRsForWavesPerEU: 52
; NumVGPRsForWavesPerEU: 19
; Occupancy: 10
; WaveLimiterHint : 0
; COMPUTE_PGM_RSRC2:SCRATCH_EN: 0
; COMPUTE_PGM_RSRC2:USER_SGPR: 6
; COMPUTE_PGM_RSRC2:TRAP_HANDLER: 0
; COMPUTE_PGM_RSRC2:TGID_X_EN: 1
; COMPUTE_PGM_RSRC2:TGID_Y_EN: 0
; COMPUTE_PGM_RSRC2:TGID_Z_EN: 0
; COMPUTE_PGM_RSRC2:TIDIG_COMP_CNT: 0
	.section	.text._ZN9rocsparseL23check_matrix_csr_deviceILj256ELj64EdliEEvT3_S1_T2_PKT1_PKS2_PKS1_S9_21rocsparse_index_base_22rocsparse_matrix_type_20rocsparse_fill_mode_23rocsparse_storage_mode_P22rocsparse_data_status_,"axG",@progbits,_ZN9rocsparseL23check_matrix_csr_deviceILj256ELj64EdliEEvT3_S1_T2_PKT1_PKS2_PKS1_S9_21rocsparse_index_base_22rocsparse_matrix_type_20rocsparse_fill_mode_23rocsparse_storage_mode_P22rocsparse_data_status_,comdat
	.globl	_ZN9rocsparseL23check_matrix_csr_deviceILj256ELj64EdliEEvT3_S1_T2_PKT1_PKS2_PKS1_S9_21rocsparse_index_base_22rocsparse_matrix_type_20rocsparse_fill_mode_23rocsparse_storage_mode_P22rocsparse_data_status_ ; -- Begin function _ZN9rocsparseL23check_matrix_csr_deviceILj256ELj64EdliEEvT3_S1_T2_PKT1_PKS2_PKS1_S9_21rocsparse_index_base_22rocsparse_matrix_type_20rocsparse_fill_mode_23rocsparse_storage_mode_P22rocsparse_data_status_
	.p2align	8
	.type	_ZN9rocsparseL23check_matrix_csr_deviceILj256ELj64EdliEEvT3_S1_T2_PKT1_PKS2_PKS1_S9_21rocsparse_index_base_22rocsparse_matrix_type_20rocsparse_fill_mode_23rocsparse_storage_mode_P22rocsparse_data_status_,@function
_ZN9rocsparseL23check_matrix_csr_deviceILj256ELj64EdliEEvT3_S1_T2_PKT1_PKS2_PKS1_S9_21rocsparse_index_base_22rocsparse_matrix_type_20rocsparse_fill_mode_23rocsparse_storage_mode_P22rocsparse_data_status_: ; @_ZN9rocsparseL23check_matrix_csr_deviceILj256ELj64EdliEEvT3_S1_T2_PKT1_PKS2_PKS1_S9_21rocsparse_index_base_22rocsparse_matrix_type_20rocsparse_fill_mode_23rocsparse_storage_mode_P22rocsparse_data_status_
; %bb.0:
	s_load_dwordx2 s[16:17], s[4:5], 0x0
	v_lshl_or_b32 v1, s6, 8, v0
	v_lshrrev_b32_e32 v15, 6, v1
	s_waitcnt lgkmcnt(0)
	v_cmp_gt_i32_e32 vcc, s16, v15
	s_and_saveexec_b64 s[0:1], vcc
	s_cbranch_execz .LBB43_31
; %bb.1:
	s_load_dwordx2 s[0:1], s[4:5], 0x18
	v_lshlrev_b32_e32 v1, 3, v15
	v_mov_b32_e32 v16, 3
	s_mov_b64 s[10:11], -1
	s_mov_b64 s[8:9], 0
	s_waitcnt lgkmcnt(0)
	global_load_dwordx4 v[5:8], v1, s[0:1]
	s_load_dwordx2 s[0:1], s[0:1], 0x0
	s_waitcnt lgkmcnt(0)
	v_mov_b32_e32 v4, s1
	s_waitcnt vmcnt(0)
	v_subrev_co_u32_e32 v1, vcc, s0, v5
	v_subb_co_u32_e32 v2, vcc, v6, v4, vcc
	v_subrev_co_u32_e32 v3, vcc, s0, v7
	v_subb_co_u32_e32 v4, vcc, v8, v4, vcc
	v_cmp_gt_i64_e64 s[0:1], 0, v[3:4]
	v_cmp_lt_i64_e64 s[2:3], v[7:8], v[5:6]
	v_cmp_lt_i64_e32 vcc, -1, v[1:2]
	s_or_b64 s[0:1], s[0:1], s[2:3]
	s_xor_b64 s[0:1], s[0:1], -1
	s_and_b64 s[0:1], vcc, s[0:1]
	s_and_saveexec_b64 s[6:7], s[0:1]
	s_cbranch_execz .LBB43_29
; %bb.2:
	v_and_b32_e32 v0, 63, v0
	v_add_co_u32_e32 v5, vcc, v1, v0
	v_addc_co_u32_e32 v6, vcc, 0, v2, vcc
	v_cmp_lt_u64_e32 vcc, v[5:6], v[3:4]
	v_mov_b32_e32 v16, 3
	s_and_saveexec_b64 s[18:19], vcc
	s_cbranch_execz .LBB43_28
; %bb.3:
	s_load_dwordx8 s[8:15], s[4:5], 0x20
	s_load_dwordx2 s[0:1], s[4:5], 0x10
	v_lshlrev_b64 v[11:12], 2, v[5:6]
	v_lshlrev_b64 v[9:10], 3, v[5:6]
                                        ; implicit-def: $sgpr24_sgpr25
                                        ; implicit-def: $sgpr26_sgpr27
                                        ; implicit-def: $sgpr28_sgpr29
	s_waitcnt lgkmcnt(0)
	v_mov_b32_e32 v0, s11
	v_add_co_u32_e32 v7, vcc, s10, v11
	v_addc_co_u32_e32 v0, vcc, v0, v12, vcc
	v_add_co_u32_e32 v7, vcc, -4, v7
	v_addc_co_u32_e32 v8, vcc, -1, v0, vcc
	s_cmp_lg_u32 s13, 0
	v_mov_b32_e32 v0, s1
	v_add_co_u32_e32 v9, vcc, s0, v9
	s_cselect_b64 s[20:21], -1, 0
	s_cmp_lg_u32 s14, 0
	v_addc_co_u32_e32 v10, vcc, v0, v10, vcc
	s_cselect_b64 s[22:23], -1, 0
	s_cmp_lg_u32 s15, 0
	v_mov_b32_e32 v0, s9
	v_add_co_u32_e32 v11, vcc, s8, v11
	s_mov_b32 s10, 0
	s_cselect_b64 s[14:15], -1, 0
	v_addc_co_u32_e32 v12, vcc, v0, v12, vcc
	s_mov_b32 s11, 0x7ff00000
	s_mov_b64 s[8:9], 0
	s_branch .LBB43_10
.LBB43_4:                               ;   in Loop: Header=BB43_10 Depth=1
	s_or_b64 exec, exec, s[0:1]
	s_orn2_b64 s[44:45], s[2:3], exec
	s_orn2_b64 s[0:1], s[40:41], exec
.LBB43_5:                               ;   in Loop: Header=BB43_10 Depth=1
	s_or_b64 exec, exec, s[42:43]
	s_orn2_b64 s[2:3], s[44:45], exec
	s_orn2_b64 s[0:1], s[0:1], exec
.LBB43_6:                               ;   in Loop: Header=BB43_10 Depth=1
	s_or_b64 exec, exec, s[38:39]
	s_orn2_b64 s[2:3], s[2:3], exec
	s_orn2_b64 s[0:1], s[0:1], exec
.LBB43_7:                               ;   in Loop: Header=BB43_10 Depth=1
	s_or_b64 exec, exec, s[36:37]
	s_orn2_b64 s[2:3], s[2:3], exec
	s_orn2_b64 s[0:1], s[0:1], exec
.LBB43_8:                               ;   in Loop: Header=BB43_10 Depth=1
	s_or_b64 exec, exec, s[34:35]
	s_andn2_b64 s[28:29], s[28:29], exec
	s_and_b64 s[2:3], s[2:3], exec
	s_or_b64 s[28:29], s[28:29], s[2:3]
	s_andn2_b64 s[2:3], s[26:27], exec
	s_and_b64 s[0:1], s[0:1], exec
	s_or_b64 s[26:27], s[2:3], s[0:1]
.LBB43_9:                               ;   in Loop: Header=BB43_10 Depth=1
	s_or_b64 exec, exec, s[30:31]
	s_and_b64 s[0:1], exec, s[26:27]
	s_or_b64 s[8:9], s[0:1], s[8:9]
	s_andn2_b64 s[0:1], s[24:25], exec
	s_and_b64 s[2:3], s[28:29], exec
	s_or_b64 s[24:25], s[0:1], s[2:3]
	s_andn2_b64 exec, exec, s[8:9]
	s_cbranch_execz .LBB43_27
.LBB43_10:                              ; =>This Inner Loop Header: Depth=1
	global_load_dword v0, v[11:12], off
	v_mov_b32_e32 v16, 4
	s_or_b64 s[28:29], s[28:29], exec
	s_or_b64 s[26:27], s[26:27], exec
	s_waitcnt vmcnt(0)
	v_subrev_u32_e32 v17, s12, v0
	v_cmp_lt_i32_e32 vcc, -1, v17
	v_cmp_gt_i32_e64 s[0:1], s17, v17
	s_and_b64 s[0:1], vcc, s[0:1]
	s_and_saveexec_b64 s[30:31], s[0:1]
	s_cbranch_execz .LBB43_9
; %bb.11:                               ;   in Loop: Header=BB43_10 Depth=1
	v_cmp_le_i64_e64 s[40:41], v[5:6], v[1:2]
	v_cmp_gt_i64_e32 vcc, v[5:6], v[1:2]
	v_mov_b32_e32 v16, 4
	s_mov_b64 s[36:37], s[40:41]
	s_and_saveexec_b64 s[34:35], vcc
	s_cbranch_execz .LBB43_13
; %bb.12:                               ;   in Loop: Header=BB43_10 Depth=1
	global_load_dwordx2 v[13:14], v[7:8], off
	v_mov_b32_e32 v16, 5
	s_waitcnt vmcnt(0)
	v_subrev_u32_e32 v18, s12, v13
	v_cmp_lt_i32_e64 s[0:1], -1, v18
	v_cmp_gt_i32_e64 s[2:3], s17, v18
	s_and_b64 s[0:1], s[0:1], s[2:3]
	v_cmp_ne_u32_e32 vcc, v14, v13
	s_xor_b64 s[0:1], s[0:1], -1
	s_or_b64 s[0:1], vcc, s[0:1]
	s_andn2_b64 s[2:3], s[40:41], exec
	s_and_b64 s[0:1], s[0:1], exec
	s_or_b64 s[36:37], s[2:3], s[0:1]
.LBB43_13:                              ;   in Loop: Header=BB43_10 Depth=1
	s_or_b64 exec, exec, s[34:35]
	s_mov_b64 s[0:1], -1
	s_mov_b64 s[2:3], -1
	s_and_saveexec_b64 s[34:35], s[36:37]
	s_cbranch_execz .LBB43_8
; %bb.14:                               ;   in Loop: Header=BB43_10 Depth=1
	global_load_dwordx2 v[13:14], v[9:10], off
	v_mov_b32_e32 v16, 1
	s_waitcnt vmcnt(0)
	v_cmp_neq_f64_e32 vcc, s[10:11], v[13:14]
	s_and_saveexec_b64 s[36:37], vcc
	s_cbranch_execz .LBB43_7
; %bb.15:                               ;   in Loop: Header=BB43_10 Depth=1
	v_cmp_o_f64_e32 vcc, v[13:14], v[13:14]
	v_mov_b32_e32 v16, 2
	s_and_saveexec_b64 s[38:39], vcc
	s_cbranch_execz .LBB43_6
; %bb.16:                               ;   in Loop: Header=BB43_10 Depth=1
	s_and_b64 vcc, exec, s[20:21]
	s_cbranch_vccz .LBB43_19
; %bb.17:                               ;   in Loop: Header=BB43_10 Depth=1
	s_and_b64 vcc, exec, s[22:23]
	s_cbranch_vccz .LBB43_20
; %bb.18:                               ;   in Loop: Header=BB43_10 Depth=1
	v_cmp_le_i32_e32 vcc, v15, v17
	s_mov_b32 s13, 7
	s_and_b64 s[2:3], vcc, exec
	s_cbranch_execz .LBB43_21
	s_branch .LBB43_22
.LBB43_19:                              ;   in Loop: Header=BB43_10 Depth=1
	s_mov_b32 s13, 2
	s_branch .LBB43_22
.LBB43_20:                              ;   in Loop: Header=BB43_10 Depth=1
	s_mov_b64 s[2:3], 0
	s_mov_b32 s13, 2
.LBB43_21:                              ;   in Loop: Header=BB43_10 Depth=1
	v_cmp_ge_i32_e32 vcc, v15, v17
	s_andn2_b64 s[2:3], s[2:3], exec
	s_and_b64 s[42:43], vcc, exec
	s_mov_b32 s13, 7
	s_or_b64 s[2:3], s[2:3], s[42:43]
.LBB43_22:                              ;   in Loop: Header=BB43_10 Depth=1
	v_mov_b32_e32 v16, s13
	s_mov_b64 s[44:45], -1
	s_and_saveexec_b64 s[42:43], s[2:3]
	s_cbranch_execz .LBB43_5
; %bb.23:                               ;   in Loop: Header=BB43_10 Depth=1
	s_nor_b64 s[0:1], s[14:15], s[40:41]
	s_mov_b64 s[40:41], -1
	v_mov_b32_e32 v16, s13
	s_and_saveexec_b64 s[46:47], s[0:1]
	s_cbranch_execz .LBB43_25
; %bb.24:                               ;   in Loop: Header=BB43_10 Depth=1
	global_load_dword v13, v[11:12], off offset:-4
	v_mov_b32_e32 v16, 6
	s_waitcnt vmcnt(0)
	v_subrev_u32_e32 v14, s12, v13
	v_cmp_lt_i32_e64 s[0:1], -1, v14
	v_cmp_gt_i32_e64 s[2:3], s17, v14
	s_and_b64 s[0:1], s[0:1], s[2:3]
	v_cmp_gt_i32_e32 vcc, v0, v13
	s_xor_b64 s[0:1], s[0:1], -1
	s_or_b64 s[0:1], vcc, s[0:1]
	s_orn2_b64 s[44:45], s[0:1], exec
.LBB43_25:                              ;   in Loop: Header=BB43_10 Depth=1
	s_or_b64 exec, exec, s[46:47]
	s_mov_b64 s[2:3], -1
	s_and_saveexec_b64 s[0:1], s[44:45]
	s_cbranch_execz .LBB43_4
; %bb.26:                               ;   in Loop: Header=BB43_10 Depth=1
	v_add_co_u32_e32 v5, vcc, 64, v5
	v_addc_co_u32_e32 v6, vcc, 0, v6, vcc
	v_add_co_u32_e32 v7, vcc, 0x100, v7
	v_addc_co_u32_e32 v8, vcc, 0, v8, vcc
	;; [unrolled: 2-line block ×4, first 2 shown]
	v_cmp_ge_i64_e32 vcc, v[5:6], v[3:4]
	s_xor_b64 s[2:3], exec, -1
	s_orn2_b64 s[40:41], vcc, exec
	s_branch .LBB43_4
.LBB43_27:
	s_or_b64 exec, exec, s[8:9]
	s_and_b64 s[8:9], s[24:25], exec
.LBB43_28:
	s_or_b64 exec, exec, s[18:19]
	s_orn2_b64 s[10:11], s[8:9], exec
.LBB43_29:
	s_or_b64 exec, exec, s[6:7]
	s_and_b64 exec, exec, s[10:11]
	s_cbranch_execz .LBB43_31
; %bb.30:
	s_load_dwordx2 s[0:1], s[4:5], 0x40
	v_mov_b32_e32 v0, 0
	s_waitcnt lgkmcnt(0)
	global_store_dword v0, v16, s[0:1]
.LBB43_31:
	s_endpgm
	.section	.rodata,"a",@progbits
	.p2align	6, 0x0
	.amdhsa_kernel _ZN9rocsparseL23check_matrix_csr_deviceILj256ELj64EdliEEvT3_S1_T2_PKT1_PKS2_PKS1_S9_21rocsparse_index_base_22rocsparse_matrix_type_20rocsparse_fill_mode_23rocsparse_storage_mode_P22rocsparse_data_status_
		.amdhsa_group_segment_fixed_size 0
		.amdhsa_private_segment_fixed_size 0
		.amdhsa_kernarg_size 72
		.amdhsa_user_sgpr_count 6
		.amdhsa_user_sgpr_private_segment_buffer 1
		.amdhsa_user_sgpr_dispatch_ptr 0
		.amdhsa_user_sgpr_queue_ptr 0
		.amdhsa_user_sgpr_kernarg_segment_ptr 1
		.amdhsa_user_sgpr_dispatch_id 0
		.amdhsa_user_sgpr_flat_scratch_init 0
		.amdhsa_user_sgpr_private_segment_size 0
		.amdhsa_uses_dynamic_stack 0
		.amdhsa_system_sgpr_private_segment_wavefront_offset 0
		.amdhsa_system_sgpr_workgroup_id_x 1
		.amdhsa_system_sgpr_workgroup_id_y 0
		.amdhsa_system_sgpr_workgroup_id_z 0
		.amdhsa_system_sgpr_workgroup_info 0
		.amdhsa_system_vgpr_workitem_id 0
		.amdhsa_next_free_vgpr 19
		.amdhsa_next_free_sgpr 48
		.amdhsa_reserve_vcc 1
		.amdhsa_reserve_flat_scratch 0
		.amdhsa_float_round_mode_32 0
		.amdhsa_float_round_mode_16_64 0
		.amdhsa_float_denorm_mode_32 3
		.amdhsa_float_denorm_mode_16_64 3
		.amdhsa_dx10_clamp 1
		.amdhsa_ieee_mode 1
		.amdhsa_fp16_overflow 0
		.amdhsa_exception_fp_ieee_invalid_op 0
		.amdhsa_exception_fp_denorm_src 0
		.amdhsa_exception_fp_ieee_div_zero 0
		.amdhsa_exception_fp_ieee_overflow 0
		.amdhsa_exception_fp_ieee_underflow 0
		.amdhsa_exception_fp_ieee_inexact 0
		.amdhsa_exception_int_div_zero 0
	.end_amdhsa_kernel
	.section	.text._ZN9rocsparseL23check_matrix_csr_deviceILj256ELj64EdliEEvT3_S1_T2_PKT1_PKS2_PKS1_S9_21rocsparse_index_base_22rocsparse_matrix_type_20rocsparse_fill_mode_23rocsparse_storage_mode_P22rocsparse_data_status_,"axG",@progbits,_ZN9rocsparseL23check_matrix_csr_deviceILj256ELj64EdliEEvT3_S1_T2_PKT1_PKS2_PKS1_S9_21rocsparse_index_base_22rocsparse_matrix_type_20rocsparse_fill_mode_23rocsparse_storage_mode_P22rocsparse_data_status_,comdat
.Lfunc_end43:
	.size	_ZN9rocsparseL23check_matrix_csr_deviceILj256ELj64EdliEEvT3_S1_T2_PKT1_PKS2_PKS1_S9_21rocsparse_index_base_22rocsparse_matrix_type_20rocsparse_fill_mode_23rocsparse_storage_mode_P22rocsparse_data_status_, .Lfunc_end43-_ZN9rocsparseL23check_matrix_csr_deviceILj256ELj64EdliEEvT3_S1_T2_PKT1_PKS2_PKS1_S9_21rocsparse_index_base_22rocsparse_matrix_type_20rocsparse_fill_mode_23rocsparse_storage_mode_P22rocsparse_data_status_
                                        ; -- End function
	.set _ZN9rocsparseL23check_matrix_csr_deviceILj256ELj64EdliEEvT3_S1_T2_PKT1_PKS2_PKS1_S9_21rocsparse_index_base_22rocsparse_matrix_type_20rocsparse_fill_mode_23rocsparse_storage_mode_P22rocsparse_data_status_.num_vgpr, 19
	.set _ZN9rocsparseL23check_matrix_csr_deviceILj256ELj64EdliEEvT3_S1_T2_PKT1_PKS2_PKS1_S9_21rocsparse_index_base_22rocsparse_matrix_type_20rocsparse_fill_mode_23rocsparse_storage_mode_P22rocsparse_data_status_.num_agpr, 0
	.set _ZN9rocsparseL23check_matrix_csr_deviceILj256ELj64EdliEEvT3_S1_T2_PKT1_PKS2_PKS1_S9_21rocsparse_index_base_22rocsparse_matrix_type_20rocsparse_fill_mode_23rocsparse_storage_mode_P22rocsparse_data_status_.numbered_sgpr, 48
	.set _ZN9rocsparseL23check_matrix_csr_deviceILj256ELj64EdliEEvT3_S1_T2_PKT1_PKS2_PKS1_S9_21rocsparse_index_base_22rocsparse_matrix_type_20rocsparse_fill_mode_23rocsparse_storage_mode_P22rocsparse_data_status_.num_named_barrier, 0
	.set _ZN9rocsparseL23check_matrix_csr_deviceILj256ELj64EdliEEvT3_S1_T2_PKT1_PKS2_PKS1_S9_21rocsparse_index_base_22rocsparse_matrix_type_20rocsparse_fill_mode_23rocsparse_storage_mode_P22rocsparse_data_status_.private_seg_size, 0
	.set _ZN9rocsparseL23check_matrix_csr_deviceILj256ELj64EdliEEvT3_S1_T2_PKT1_PKS2_PKS1_S9_21rocsparse_index_base_22rocsparse_matrix_type_20rocsparse_fill_mode_23rocsparse_storage_mode_P22rocsparse_data_status_.uses_vcc, 1
	.set _ZN9rocsparseL23check_matrix_csr_deviceILj256ELj64EdliEEvT3_S1_T2_PKT1_PKS2_PKS1_S9_21rocsparse_index_base_22rocsparse_matrix_type_20rocsparse_fill_mode_23rocsparse_storage_mode_P22rocsparse_data_status_.uses_flat_scratch, 0
	.set _ZN9rocsparseL23check_matrix_csr_deviceILj256ELj64EdliEEvT3_S1_T2_PKT1_PKS2_PKS1_S9_21rocsparse_index_base_22rocsparse_matrix_type_20rocsparse_fill_mode_23rocsparse_storage_mode_P22rocsparse_data_status_.has_dyn_sized_stack, 0
	.set _ZN9rocsparseL23check_matrix_csr_deviceILj256ELj64EdliEEvT3_S1_T2_PKT1_PKS2_PKS1_S9_21rocsparse_index_base_22rocsparse_matrix_type_20rocsparse_fill_mode_23rocsparse_storage_mode_P22rocsparse_data_status_.has_recursion, 0
	.set _ZN9rocsparseL23check_matrix_csr_deviceILj256ELj64EdliEEvT3_S1_T2_PKT1_PKS2_PKS1_S9_21rocsparse_index_base_22rocsparse_matrix_type_20rocsparse_fill_mode_23rocsparse_storage_mode_P22rocsparse_data_status_.has_indirect_call, 0
	.section	.AMDGPU.csdata,"",@progbits
; Kernel info:
; codeLenInByte = 912
; TotalNumSgprs: 52
; NumVgprs: 19
; ScratchSize: 0
; MemoryBound: 0
; FloatMode: 240
; IeeeMode: 1
; LDSByteSize: 0 bytes/workgroup (compile time only)
; SGPRBlocks: 6
; VGPRBlocks: 4
; NumSGPRsForWavesPerEU: 52
; NumVGPRsForWavesPerEU: 19
; Occupancy: 10
; WaveLimiterHint : 0
; COMPUTE_PGM_RSRC2:SCRATCH_EN: 0
; COMPUTE_PGM_RSRC2:USER_SGPR: 6
; COMPUTE_PGM_RSRC2:TRAP_HANDLER: 0
; COMPUTE_PGM_RSRC2:TGID_X_EN: 1
; COMPUTE_PGM_RSRC2:TGID_Y_EN: 0
; COMPUTE_PGM_RSRC2:TGID_Z_EN: 0
; COMPUTE_PGM_RSRC2:TIDIG_COMP_CNT: 0
	.section	.text._ZN9rocsparseL23check_matrix_csr_deviceILj256ELj128EdliEEvT3_S1_T2_PKT1_PKS2_PKS1_S9_21rocsparse_index_base_22rocsparse_matrix_type_20rocsparse_fill_mode_23rocsparse_storage_mode_P22rocsparse_data_status_,"axG",@progbits,_ZN9rocsparseL23check_matrix_csr_deviceILj256ELj128EdliEEvT3_S1_T2_PKT1_PKS2_PKS1_S9_21rocsparse_index_base_22rocsparse_matrix_type_20rocsparse_fill_mode_23rocsparse_storage_mode_P22rocsparse_data_status_,comdat
	.globl	_ZN9rocsparseL23check_matrix_csr_deviceILj256ELj128EdliEEvT3_S1_T2_PKT1_PKS2_PKS1_S9_21rocsparse_index_base_22rocsparse_matrix_type_20rocsparse_fill_mode_23rocsparse_storage_mode_P22rocsparse_data_status_ ; -- Begin function _ZN9rocsparseL23check_matrix_csr_deviceILj256ELj128EdliEEvT3_S1_T2_PKT1_PKS2_PKS1_S9_21rocsparse_index_base_22rocsparse_matrix_type_20rocsparse_fill_mode_23rocsparse_storage_mode_P22rocsparse_data_status_
	.p2align	8
	.type	_ZN9rocsparseL23check_matrix_csr_deviceILj256ELj128EdliEEvT3_S1_T2_PKT1_PKS2_PKS1_S9_21rocsparse_index_base_22rocsparse_matrix_type_20rocsparse_fill_mode_23rocsparse_storage_mode_P22rocsparse_data_status_,@function
_ZN9rocsparseL23check_matrix_csr_deviceILj256ELj128EdliEEvT3_S1_T2_PKT1_PKS2_PKS1_S9_21rocsparse_index_base_22rocsparse_matrix_type_20rocsparse_fill_mode_23rocsparse_storage_mode_P22rocsparse_data_status_: ; @_ZN9rocsparseL23check_matrix_csr_deviceILj256ELj128EdliEEvT3_S1_T2_PKT1_PKS2_PKS1_S9_21rocsparse_index_base_22rocsparse_matrix_type_20rocsparse_fill_mode_23rocsparse_storage_mode_P22rocsparse_data_status_
; %bb.0:
	s_load_dwordx2 s[16:17], s[4:5], 0x0
	v_lshl_or_b32 v1, s6, 8, v0
	v_lshrrev_b32_e32 v15, 7, v1
	s_waitcnt lgkmcnt(0)
	v_cmp_gt_i32_e32 vcc, s16, v15
	s_and_saveexec_b64 s[0:1], vcc
	s_cbranch_execz .LBB44_31
; %bb.1:
	s_load_dwordx2 s[0:1], s[4:5], 0x18
	v_lshlrev_b32_e32 v1, 3, v15
	v_mov_b32_e32 v16, 3
	s_mov_b64 s[10:11], -1
	s_mov_b64 s[8:9], 0
	s_waitcnt lgkmcnt(0)
	global_load_dwordx4 v[5:8], v1, s[0:1]
	s_load_dwordx2 s[0:1], s[0:1], 0x0
	s_waitcnt lgkmcnt(0)
	v_mov_b32_e32 v4, s1
	s_waitcnt vmcnt(0)
	v_subrev_co_u32_e32 v1, vcc, s0, v5
	v_subb_co_u32_e32 v2, vcc, v6, v4, vcc
	v_subrev_co_u32_e32 v3, vcc, s0, v7
	v_subb_co_u32_e32 v4, vcc, v8, v4, vcc
	v_cmp_gt_i64_e64 s[0:1], 0, v[3:4]
	v_cmp_lt_i64_e64 s[2:3], v[7:8], v[5:6]
	v_cmp_lt_i64_e32 vcc, -1, v[1:2]
	s_or_b64 s[0:1], s[0:1], s[2:3]
	s_xor_b64 s[0:1], s[0:1], -1
	s_and_b64 s[0:1], vcc, s[0:1]
	s_and_saveexec_b64 s[6:7], s[0:1]
	s_cbranch_execz .LBB44_29
; %bb.2:
	v_and_b32_e32 v0, 0x7f, v0
	v_add_co_u32_e32 v5, vcc, v1, v0
	v_addc_co_u32_e32 v6, vcc, 0, v2, vcc
	v_cmp_lt_u64_e32 vcc, v[5:6], v[3:4]
	v_mov_b32_e32 v16, 3
	s_and_saveexec_b64 s[18:19], vcc
	s_cbranch_execz .LBB44_28
; %bb.3:
	s_load_dwordx8 s[8:15], s[4:5], 0x20
	s_load_dwordx2 s[0:1], s[4:5], 0x10
	v_lshlrev_b64 v[11:12], 2, v[5:6]
	v_lshlrev_b64 v[9:10], 3, v[5:6]
                                        ; implicit-def: $sgpr24_sgpr25
                                        ; implicit-def: $sgpr26_sgpr27
                                        ; implicit-def: $sgpr28_sgpr29
	s_waitcnt lgkmcnt(0)
	v_mov_b32_e32 v0, s11
	v_add_co_u32_e32 v7, vcc, s10, v11
	v_addc_co_u32_e32 v0, vcc, v0, v12, vcc
	v_add_co_u32_e32 v7, vcc, -4, v7
	v_addc_co_u32_e32 v8, vcc, -1, v0, vcc
	s_cmp_lg_u32 s13, 0
	v_mov_b32_e32 v0, s1
	v_add_co_u32_e32 v9, vcc, s0, v9
	s_cselect_b64 s[20:21], -1, 0
	s_cmp_lg_u32 s14, 0
	v_addc_co_u32_e32 v10, vcc, v0, v10, vcc
	s_cselect_b64 s[22:23], -1, 0
	s_cmp_lg_u32 s15, 0
	v_mov_b32_e32 v0, s9
	v_add_co_u32_e32 v11, vcc, s8, v11
	s_mov_b32 s10, 0
	s_cselect_b64 s[14:15], -1, 0
	v_addc_co_u32_e32 v12, vcc, v0, v12, vcc
	s_mov_b32 s11, 0x7ff00000
	s_mov_b64 s[8:9], 0
	s_branch .LBB44_10
.LBB44_4:                               ;   in Loop: Header=BB44_10 Depth=1
	s_or_b64 exec, exec, s[0:1]
	s_orn2_b64 s[44:45], s[2:3], exec
	s_orn2_b64 s[0:1], s[40:41], exec
.LBB44_5:                               ;   in Loop: Header=BB44_10 Depth=1
	s_or_b64 exec, exec, s[42:43]
	s_orn2_b64 s[2:3], s[44:45], exec
	s_orn2_b64 s[0:1], s[0:1], exec
.LBB44_6:                               ;   in Loop: Header=BB44_10 Depth=1
	s_or_b64 exec, exec, s[38:39]
	s_orn2_b64 s[2:3], s[2:3], exec
	s_orn2_b64 s[0:1], s[0:1], exec
.LBB44_7:                               ;   in Loop: Header=BB44_10 Depth=1
	s_or_b64 exec, exec, s[36:37]
	s_orn2_b64 s[2:3], s[2:3], exec
	s_orn2_b64 s[0:1], s[0:1], exec
.LBB44_8:                               ;   in Loop: Header=BB44_10 Depth=1
	s_or_b64 exec, exec, s[34:35]
	s_andn2_b64 s[28:29], s[28:29], exec
	s_and_b64 s[2:3], s[2:3], exec
	s_or_b64 s[28:29], s[28:29], s[2:3]
	s_andn2_b64 s[2:3], s[26:27], exec
	s_and_b64 s[0:1], s[0:1], exec
	s_or_b64 s[26:27], s[2:3], s[0:1]
.LBB44_9:                               ;   in Loop: Header=BB44_10 Depth=1
	s_or_b64 exec, exec, s[30:31]
	s_and_b64 s[0:1], exec, s[26:27]
	s_or_b64 s[8:9], s[0:1], s[8:9]
	s_andn2_b64 s[0:1], s[24:25], exec
	s_and_b64 s[2:3], s[28:29], exec
	s_or_b64 s[24:25], s[0:1], s[2:3]
	s_andn2_b64 exec, exec, s[8:9]
	s_cbranch_execz .LBB44_27
.LBB44_10:                              ; =>This Inner Loop Header: Depth=1
	global_load_dword v0, v[11:12], off
	v_mov_b32_e32 v16, 4
	s_or_b64 s[28:29], s[28:29], exec
	s_or_b64 s[26:27], s[26:27], exec
	s_waitcnt vmcnt(0)
	v_subrev_u32_e32 v17, s12, v0
	v_cmp_lt_i32_e32 vcc, -1, v17
	v_cmp_gt_i32_e64 s[0:1], s17, v17
	s_and_b64 s[0:1], vcc, s[0:1]
	s_and_saveexec_b64 s[30:31], s[0:1]
	s_cbranch_execz .LBB44_9
; %bb.11:                               ;   in Loop: Header=BB44_10 Depth=1
	v_cmp_le_i64_e64 s[40:41], v[5:6], v[1:2]
	v_cmp_gt_i64_e32 vcc, v[5:6], v[1:2]
	v_mov_b32_e32 v16, 4
	s_mov_b64 s[36:37], s[40:41]
	s_and_saveexec_b64 s[34:35], vcc
	s_cbranch_execz .LBB44_13
; %bb.12:                               ;   in Loop: Header=BB44_10 Depth=1
	global_load_dwordx2 v[13:14], v[7:8], off
	v_mov_b32_e32 v16, 5
	s_waitcnt vmcnt(0)
	v_subrev_u32_e32 v18, s12, v13
	v_cmp_lt_i32_e64 s[0:1], -1, v18
	v_cmp_gt_i32_e64 s[2:3], s17, v18
	s_and_b64 s[0:1], s[0:1], s[2:3]
	v_cmp_ne_u32_e32 vcc, v14, v13
	s_xor_b64 s[0:1], s[0:1], -1
	s_or_b64 s[0:1], vcc, s[0:1]
	s_andn2_b64 s[2:3], s[40:41], exec
	s_and_b64 s[0:1], s[0:1], exec
	s_or_b64 s[36:37], s[2:3], s[0:1]
.LBB44_13:                              ;   in Loop: Header=BB44_10 Depth=1
	s_or_b64 exec, exec, s[34:35]
	s_mov_b64 s[0:1], -1
	s_mov_b64 s[2:3], -1
	s_and_saveexec_b64 s[34:35], s[36:37]
	s_cbranch_execz .LBB44_8
; %bb.14:                               ;   in Loop: Header=BB44_10 Depth=1
	global_load_dwordx2 v[13:14], v[9:10], off
	v_mov_b32_e32 v16, 1
	s_waitcnt vmcnt(0)
	v_cmp_neq_f64_e32 vcc, s[10:11], v[13:14]
	s_and_saveexec_b64 s[36:37], vcc
	s_cbranch_execz .LBB44_7
; %bb.15:                               ;   in Loop: Header=BB44_10 Depth=1
	v_cmp_o_f64_e32 vcc, v[13:14], v[13:14]
	v_mov_b32_e32 v16, 2
	s_and_saveexec_b64 s[38:39], vcc
	s_cbranch_execz .LBB44_6
; %bb.16:                               ;   in Loop: Header=BB44_10 Depth=1
	s_and_b64 vcc, exec, s[20:21]
	s_cbranch_vccz .LBB44_19
; %bb.17:                               ;   in Loop: Header=BB44_10 Depth=1
	s_and_b64 vcc, exec, s[22:23]
	s_cbranch_vccz .LBB44_20
; %bb.18:                               ;   in Loop: Header=BB44_10 Depth=1
	v_cmp_le_i32_e32 vcc, v15, v17
	s_mov_b32 s13, 7
	s_and_b64 s[2:3], vcc, exec
	s_cbranch_execz .LBB44_21
	s_branch .LBB44_22
.LBB44_19:                              ;   in Loop: Header=BB44_10 Depth=1
	s_mov_b32 s13, 2
	s_branch .LBB44_22
.LBB44_20:                              ;   in Loop: Header=BB44_10 Depth=1
	s_mov_b64 s[2:3], 0
	s_mov_b32 s13, 2
.LBB44_21:                              ;   in Loop: Header=BB44_10 Depth=1
	v_cmp_ge_i32_e32 vcc, v15, v17
	s_andn2_b64 s[2:3], s[2:3], exec
	s_and_b64 s[42:43], vcc, exec
	s_mov_b32 s13, 7
	s_or_b64 s[2:3], s[2:3], s[42:43]
.LBB44_22:                              ;   in Loop: Header=BB44_10 Depth=1
	v_mov_b32_e32 v16, s13
	s_mov_b64 s[44:45], -1
	s_and_saveexec_b64 s[42:43], s[2:3]
	s_cbranch_execz .LBB44_5
; %bb.23:                               ;   in Loop: Header=BB44_10 Depth=1
	s_nor_b64 s[0:1], s[14:15], s[40:41]
	s_mov_b64 s[40:41], -1
	v_mov_b32_e32 v16, s13
	s_and_saveexec_b64 s[46:47], s[0:1]
	s_cbranch_execz .LBB44_25
; %bb.24:                               ;   in Loop: Header=BB44_10 Depth=1
	global_load_dword v13, v[11:12], off offset:-4
	v_mov_b32_e32 v16, 6
	s_waitcnt vmcnt(0)
	v_subrev_u32_e32 v14, s12, v13
	v_cmp_lt_i32_e64 s[0:1], -1, v14
	v_cmp_gt_i32_e64 s[2:3], s17, v14
	s_and_b64 s[0:1], s[0:1], s[2:3]
	v_cmp_gt_i32_e32 vcc, v0, v13
	s_xor_b64 s[0:1], s[0:1], -1
	s_or_b64 s[0:1], vcc, s[0:1]
	s_orn2_b64 s[44:45], s[0:1], exec
.LBB44_25:                              ;   in Loop: Header=BB44_10 Depth=1
	s_or_b64 exec, exec, s[46:47]
	s_mov_b64 s[2:3], -1
	s_and_saveexec_b64 s[0:1], s[44:45]
	s_cbranch_execz .LBB44_4
; %bb.26:                               ;   in Loop: Header=BB44_10 Depth=1
	v_add_co_u32_e32 v5, vcc, 0x80, v5
	v_addc_co_u32_e32 v6, vcc, 0, v6, vcc
	v_add_co_u32_e32 v7, vcc, 0x200, v7
	v_addc_co_u32_e32 v8, vcc, 0, v8, vcc
	;; [unrolled: 2-line block ×4, first 2 shown]
	v_cmp_ge_i64_e32 vcc, v[5:6], v[3:4]
	s_xor_b64 s[2:3], exec, -1
	s_orn2_b64 s[40:41], vcc, exec
	s_branch .LBB44_4
.LBB44_27:
	s_or_b64 exec, exec, s[8:9]
	s_and_b64 s[8:9], s[24:25], exec
.LBB44_28:
	s_or_b64 exec, exec, s[18:19]
	s_orn2_b64 s[10:11], s[8:9], exec
.LBB44_29:
	s_or_b64 exec, exec, s[6:7]
	s_and_b64 exec, exec, s[10:11]
	s_cbranch_execz .LBB44_31
; %bb.30:
	s_load_dwordx2 s[0:1], s[4:5], 0x40
	v_mov_b32_e32 v0, 0
	s_waitcnt lgkmcnt(0)
	global_store_dword v0, v16, s[0:1]
.LBB44_31:
	s_endpgm
	.section	.rodata,"a",@progbits
	.p2align	6, 0x0
	.amdhsa_kernel _ZN9rocsparseL23check_matrix_csr_deviceILj256ELj128EdliEEvT3_S1_T2_PKT1_PKS2_PKS1_S9_21rocsparse_index_base_22rocsparse_matrix_type_20rocsparse_fill_mode_23rocsparse_storage_mode_P22rocsparse_data_status_
		.amdhsa_group_segment_fixed_size 0
		.amdhsa_private_segment_fixed_size 0
		.amdhsa_kernarg_size 72
		.amdhsa_user_sgpr_count 6
		.amdhsa_user_sgpr_private_segment_buffer 1
		.amdhsa_user_sgpr_dispatch_ptr 0
		.amdhsa_user_sgpr_queue_ptr 0
		.amdhsa_user_sgpr_kernarg_segment_ptr 1
		.amdhsa_user_sgpr_dispatch_id 0
		.amdhsa_user_sgpr_flat_scratch_init 0
		.amdhsa_user_sgpr_private_segment_size 0
		.amdhsa_uses_dynamic_stack 0
		.amdhsa_system_sgpr_private_segment_wavefront_offset 0
		.amdhsa_system_sgpr_workgroup_id_x 1
		.amdhsa_system_sgpr_workgroup_id_y 0
		.amdhsa_system_sgpr_workgroup_id_z 0
		.amdhsa_system_sgpr_workgroup_info 0
		.amdhsa_system_vgpr_workitem_id 0
		.amdhsa_next_free_vgpr 19
		.amdhsa_next_free_sgpr 48
		.amdhsa_reserve_vcc 1
		.amdhsa_reserve_flat_scratch 0
		.amdhsa_float_round_mode_32 0
		.amdhsa_float_round_mode_16_64 0
		.amdhsa_float_denorm_mode_32 3
		.amdhsa_float_denorm_mode_16_64 3
		.amdhsa_dx10_clamp 1
		.amdhsa_ieee_mode 1
		.amdhsa_fp16_overflow 0
		.amdhsa_exception_fp_ieee_invalid_op 0
		.amdhsa_exception_fp_denorm_src 0
		.amdhsa_exception_fp_ieee_div_zero 0
		.amdhsa_exception_fp_ieee_overflow 0
		.amdhsa_exception_fp_ieee_underflow 0
		.amdhsa_exception_fp_ieee_inexact 0
		.amdhsa_exception_int_div_zero 0
	.end_amdhsa_kernel
	.section	.text._ZN9rocsparseL23check_matrix_csr_deviceILj256ELj128EdliEEvT3_S1_T2_PKT1_PKS2_PKS1_S9_21rocsparse_index_base_22rocsparse_matrix_type_20rocsparse_fill_mode_23rocsparse_storage_mode_P22rocsparse_data_status_,"axG",@progbits,_ZN9rocsparseL23check_matrix_csr_deviceILj256ELj128EdliEEvT3_S1_T2_PKT1_PKS2_PKS1_S9_21rocsparse_index_base_22rocsparse_matrix_type_20rocsparse_fill_mode_23rocsparse_storage_mode_P22rocsparse_data_status_,comdat
.Lfunc_end44:
	.size	_ZN9rocsparseL23check_matrix_csr_deviceILj256ELj128EdliEEvT3_S1_T2_PKT1_PKS2_PKS1_S9_21rocsparse_index_base_22rocsparse_matrix_type_20rocsparse_fill_mode_23rocsparse_storage_mode_P22rocsparse_data_status_, .Lfunc_end44-_ZN9rocsparseL23check_matrix_csr_deviceILj256ELj128EdliEEvT3_S1_T2_PKT1_PKS2_PKS1_S9_21rocsparse_index_base_22rocsparse_matrix_type_20rocsparse_fill_mode_23rocsparse_storage_mode_P22rocsparse_data_status_
                                        ; -- End function
	.set _ZN9rocsparseL23check_matrix_csr_deviceILj256ELj128EdliEEvT3_S1_T2_PKT1_PKS2_PKS1_S9_21rocsparse_index_base_22rocsparse_matrix_type_20rocsparse_fill_mode_23rocsparse_storage_mode_P22rocsparse_data_status_.num_vgpr, 19
	.set _ZN9rocsparseL23check_matrix_csr_deviceILj256ELj128EdliEEvT3_S1_T2_PKT1_PKS2_PKS1_S9_21rocsparse_index_base_22rocsparse_matrix_type_20rocsparse_fill_mode_23rocsparse_storage_mode_P22rocsparse_data_status_.num_agpr, 0
	.set _ZN9rocsparseL23check_matrix_csr_deviceILj256ELj128EdliEEvT3_S1_T2_PKT1_PKS2_PKS1_S9_21rocsparse_index_base_22rocsparse_matrix_type_20rocsparse_fill_mode_23rocsparse_storage_mode_P22rocsparse_data_status_.numbered_sgpr, 48
	.set _ZN9rocsparseL23check_matrix_csr_deviceILj256ELj128EdliEEvT3_S1_T2_PKT1_PKS2_PKS1_S9_21rocsparse_index_base_22rocsparse_matrix_type_20rocsparse_fill_mode_23rocsparse_storage_mode_P22rocsparse_data_status_.num_named_barrier, 0
	.set _ZN9rocsparseL23check_matrix_csr_deviceILj256ELj128EdliEEvT3_S1_T2_PKT1_PKS2_PKS1_S9_21rocsparse_index_base_22rocsparse_matrix_type_20rocsparse_fill_mode_23rocsparse_storage_mode_P22rocsparse_data_status_.private_seg_size, 0
	.set _ZN9rocsparseL23check_matrix_csr_deviceILj256ELj128EdliEEvT3_S1_T2_PKT1_PKS2_PKS1_S9_21rocsparse_index_base_22rocsparse_matrix_type_20rocsparse_fill_mode_23rocsparse_storage_mode_P22rocsparse_data_status_.uses_vcc, 1
	.set _ZN9rocsparseL23check_matrix_csr_deviceILj256ELj128EdliEEvT3_S1_T2_PKT1_PKS2_PKS1_S9_21rocsparse_index_base_22rocsparse_matrix_type_20rocsparse_fill_mode_23rocsparse_storage_mode_P22rocsparse_data_status_.uses_flat_scratch, 0
	.set _ZN9rocsparseL23check_matrix_csr_deviceILj256ELj128EdliEEvT3_S1_T2_PKT1_PKS2_PKS1_S9_21rocsparse_index_base_22rocsparse_matrix_type_20rocsparse_fill_mode_23rocsparse_storage_mode_P22rocsparse_data_status_.has_dyn_sized_stack, 0
	.set _ZN9rocsparseL23check_matrix_csr_deviceILj256ELj128EdliEEvT3_S1_T2_PKT1_PKS2_PKS1_S9_21rocsparse_index_base_22rocsparse_matrix_type_20rocsparse_fill_mode_23rocsparse_storage_mode_P22rocsparse_data_status_.has_recursion, 0
	.set _ZN9rocsparseL23check_matrix_csr_deviceILj256ELj128EdliEEvT3_S1_T2_PKT1_PKS2_PKS1_S9_21rocsparse_index_base_22rocsparse_matrix_type_20rocsparse_fill_mode_23rocsparse_storage_mode_P22rocsparse_data_status_.has_indirect_call, 0
	.section	.AMDGPU.csdata,"",@progbits
; Kernel info:
; codeLenInByte = 920
; TotalNumSgprs: 52
; NumVgprs: 19
; ScratchSize: 0
; MemoryBound: 0
; FloatMode: 240
; IeeeMode: 1
; LDSByteSize: 0 bytes/workgroup (compile time only)
; SGPRBlocks: 6
; VGPRBlocks: 4
; NumSGPRsForWavesPerEU: 52
; NumVGPRsForWavesPerEU: 19
; Occupancy: 10
; WaveLimiterHint : 0
; COMPUTE_PGM_RSRC2:SCRATCH_EN: 0
; COMPUTE_PGM_RSRC2:USER_SGPR: 6
; COMPUTE_PGM_RSRC2:TRAP_HANDLER: 0
; COMPUTE_PGM_RSRC2:TGID_X_EN: 1
; COMPUTE_PGM_RSRC2:TGID_Y_EN: 0
; COMPUTE_PGM_RSRC2:TGID_Z_EN: 0
; COMPUTE_PGM_RSRC2:TIDIG_COMP_CNT: 0
	.section	.text._ZN9rocsparseL23check_matrix_csr_deviceILj256ELj256EdliEEvT3_S1_T2_PKT1_PKS2_PKS1_S9_21rocsparse_index_base_22rocsparse_matrix_type_20rocsparse_fill_mode_23rocsparse_storage_mode_P22rocsparse_data_status_,"axG",@progbits,_ZN9rocsparseL23check_matrix_csr_deviceILj256ELj256EdliEEvT3_S1_T2_PKT1_PKS2_PKS1_S9_21rocsparse_index_base_22rocsparse_matrix_type_20rocsparse_fill_mode_23rocsparse_storage_mode_P22rocsparse_data_status_,comdat
	.globl	_ZN9rocsparseL23check_matrix_csr_deviceILj256ELj256EdliEEvT3_S1_T2_PKT1_PKS2_PKS1_S9_21rocsparse_index_base_22rocsparse_matrix_type_20rocsparse_fill_mode_23rocsparse_storage_mode_P22rocsparse_data_status_ ; -- Begin function _ZN9rocsparseL23check_matrix_csr_deviceILj256ELj256EdliEEvT3_S1_T2_PKT1_PKS2_PKS1_S9_21rocsparse_index_base_22rocsparse_matrix_type_20rocsparse_fill_mode_23rocsparse_storage_mode_P22rocsparse_data_status_
	.p2align	8
	.type	_ZN9rocsparseL23check_matrix_csr_deviceILj256ELj256EdliEEvT3_S1_T2_PKT1_PKS2_PKS1_S9_21rocsparse_index_base_22rocsparse_matrix_type_20rocsparse_fill_mode_23rocsparse_storage_mode_P22rocsparse_data_status_,@function
_ZN9rocsparseL23check_matrix_csr_deviceILj256ELj256EdliEEvT3_S1_T2_PKT1_PKS2_PKS1_S9_21rocsparse_index_base_22rocsparse_matrix_type_20rocsparse_fill_mode_23rocsparse_storage_mode_P22rocsparse_data_status_: ; @_ZN9rocsparseL23check_matrix_csr_deviceILj256ELj256EdliEEvT3_S1_T2_PKT1_PKS2_PKS1_S9_21rocsparse_index_base_22rocsparse_matrix_type_20rocsparse_fill_mode_23rocsparse_storage_mode_P22rocsparse_data_status_
; %bb.0:
	s_load_dwordx2 s[16:17], s[4:5], 0x0
	s_and_b32 s33, s6, 0xffffff
	s_waitcnt lgkmcnt(0)
	s_cmp_lt_i32 s33, s16
	s_cselect_b64 s[0:1], -1, 0
	s_and_saveexec_b64 s[2:3], s[0:1]
	s_cbranch_execz .LBB45_31
; %bb.1:
	s_load_dwordx2 s[0:1], s[4:5], 0x18
	v_lshlrev_b32_e64 v1, 3, s33
	v_mov_b32_e32 v15, 3
	s_mov_b64 s[10:11], -1
	s_mov_b64 s[8:9], 0
	s_waitcnt lgkmcnt(0)
	global_load_dwordx4 v[5:8], v1, s[0:1]
	s_load_dwordx2 s[0:1], s[0:1], 0x0
	s_waitcnt lgkmcnt(0)
	v_mov_b32_e32 v4, s1
	s_waitcnt vmcnt(0)
	v_subrev_co_u32_e32 v1, vcc, s0, v5
	v_subb_co_u32_e32 v2, vcc, v6, v4, vcc
	v_subrev_co_u32_e32 v3, vcc, s0, v7
	v_subb_co_u32_e32 v4, vcc, v8, v4, vcc
	v_cmp_gt_i64_e64 s[0:1], 0, v[3:4]
	v_cmp_lt_i64_e64 s[2:3], v[7:8], v[5:6]
	v_cmp_lt_i64_e32 vcc, -1, v[1:2]
	s_or_b64 s[0:1], s[0:1], s[2:3]
	s_xor_b64 s[0:1], s[0:1], -1
	s_and_b64 s[0:1], vcc, s[0:1]
	s_and_saveexec_b64 s[6:7], s[0:1]
	s_cbranch_execz .LBB45_29
; %bb.2:
	v_add_co_u32_e32 v5, vcc, v1, v0
	v_addc_co_u32_e32 v6, vcc, 0, v2, vcc
	v_cmp_lt_u64_e32 vcc, v[5:6], v[3:4]
	v_mov_b32_e32 v15, 3
	s_and_saveexec_b64 s[18:19], vcc
	s_cbranch_execz .LBB45_28
; %bb.3:
	s_load_dwordx8 s[8:15], s[4:5], 0x20
	s_load_dwordx2 s[0:1], s[4:5], 0x10
	v_lshlrev_b64 v[11:12], 2, v[5:6]
	v_lshlrev_b64 v[9:10], 3, v[5:6]
                                        ; implicit-def: $sgpr24_sgpr25
                                        ; implicit-def: $sgpr26_sgpr27
                                        ; implicit-def: $sgpr28_sgpr29
	s_waitcnt lgkmcnt(0)
	v_mov_b32_e32 v0, s11
	v_add_co_u32_e32 v7, vcc, s10, v11
	v_addc_co_u32_e32 v0, vcc, v0, v12, vcc
	v_add_co_u32_e32 v7, vcc, -4, v7
	v_addc_co_u32_e32 v8, vcc, -1, v0, vcc
	s_cmp_lg_u32 s13, 0
	v_mov_b32_e32 v0, s1
	v_add_co_u32_e32 v9, vcc, s0, v9
	s_cselect_b64 s[20:21], -1, 0
	s_cmp_lg_u32 s14, 0
	v_addc_co_u32_e32 v10, vcc, v0, v10, vcc
	s_cselect_b64 s[22:23], -1, 0
	s_cmp_lg_u32 s15, 0
	v_mov_b32_e32 v0, s9
	v_add_co_u32_e32 v11, vcc, s8, v11
	s_mov_b32 s10, 0
	s_cselect_b64 s[14:15], -1, 0
	v_addc_co_u32_e32 v12, vcc, v0, v12, vcc
	s_mov_b32 s11, 0x7ff00000
	s_mov_b64 s[8:9], 0
	s_branch .LBB45_10
.LBB45_4:                               ;   in Loop: Header=BB45_10 Depth=1
	s_or_b64 exec, exec, s[0:1]
	s_orn2_b64 s[44:45], s[2:3], exec
	s_orn2_b64 s[0:1], s[40:41], exec
.LBB45_5:                               ;   in Loop: Header=BB45_10 Depth=1
	s_or_b64 exec, exec, s[42:43]
	s_orn2_b64 s[2:3], s[44:45], exec
	s_orn2_b64 s[0:1], s[0:1], exec
.LBB45_6:                               ;   in Loop: Header=BB45_10 Depth=1
	s_or_b64 exec, exec, s[38:39]
	s_orn2_b64 s[2:3], s[2:3], exec
	s_orn2_b64 s[0:1], s[0:1], exec
.LBB45_7:                               ;   in Loop: Header=BB45_10 Depth=1
	s_or_b64 exec, exec, s[36:37]
	s_orn2_b64 s[2:3], s[2:3], exec
	s_orn2_b64 s[0:1], s[0:1], exec
.LBB45_8:                               ;   in Loop: Header=BB45_10 Depth=1
	s_or_b64 exec, exec, s[34:35]
	s_andn2_b64 s[28:29], s[28:29], exec
	s_and_b64 s[2:3], s[2:3], exec
	s_or_b64 s[28:29], s[28:29], s[2:3]
	s_andn2_b64 s[2:3], s[26:27], exec
	s_and_b64 s[0:1], s[0:1], exec
	s_or_b64 s[26:27], s[2:3], s[0:1]
.LBB45_9:                               ;   in Loop: Header=BB45_10 Depth=1
	s_or_b64 exec, exec, s[30:31]
	s_and_b64 s[0:1], exec, s[26:27]
	s_or_b64 s[8:9], s[0:1], s[8:9]
	s_andn2_b64 s[0:1], s[24:25], exec
	s_and_b64 s[2:3], s[28:29], exec
	s_or_b64 s[24:25], s[0:1], s[2:3]
	s_andn2_b64 exec, exec, s[8:9]
	s_cbranch_execz .LBB45_27
.LBB45_10:                              ; =>This Inner Loop Header: Depth=1
	global_load_dword v0, v[11:12], off
	v_mov_b32_e32 v15, 4
	s_or_b64 s[28:29], s[28:29], exec
	s_or_b64 s[26:27], s[26:27], exec
	s_waitcnt vmcnt(0)
	v_subrev_u32_e32 v16, s12, v0
	v_cmp_lt_i32_e32 vcc, -1, v16
	v_cmp_gt_i32_e64 s[0:1], s17, v16
	s_and_b64 s[0:1], vcc, s[0:1]
	s_and_saveexec_b64 s[30:31], s[0:1]
	s_cbranch_execz .LBB45_9
; %bb.11:                               ;   in Loop: Header=BB45_10 Depth=1
	v_cmp_le_i64_e64 s[40:41], v[5:6], v[1:2]
	v_cmp_gt_i64_e32 vcc, v[5:6], v[1:2]
	v_mov_b32_e32 v15, 4
	s_mov_b64 s[36:37], s[40:41]
	s_and_saveexec_b64 s[34:35], vcc
	s_cbranch_execz .LBB45_13
; %bb.12:                               ;   in Loop: Header=BB45_10 Depth=1
	global_load_dwordx2 v[13:14], v[7:8], off
	v_mov_b32_e32 v15, 5
	s_waitcnt vmcnt(0)
	v_subrev_u32_e32 v17, s12, v13
	v_cmp_lt_i32_e64 s[0:1], -1, v17
	v_cmp_gt_i32_e64 s[2:3], s17, v17
	s_and_b64 s[0:1], s[0:1], s[2:3]
	v_cmp_ne_u32_e32 vcc, v14, v13
	s_xor_b64 s[0:1], s[0:1], -1
	s_or_b64 s[0:1], vcc, s[0:1]
	s_andn2_b64 s[2:3], s[40:41], exec
	s_and_b64 s[0:1], s[0:1], exec
	s_or_b64 s[36:37], s[2:3], s[0:1]
.LBB45_13:                              ;   in Loop: Header=BB45_10 Depth=1
	s_or_b64 exec, exec, s[34:35]
	s_mov_b64 s[0:1], -1
	s_mov_b64 s[2:3], -1
	s_and_saveexec_b64 s[34:35], s[36:37]
	s_cbranch_execz .LBB45_8
; %bb.14:                               ;   in Loop: Header=BB45_10 Depth=1
	global_load_dwordx2 v[13:14], v[9:10], off
	v_mov_b32_e32 v15, 1
	s_waitcnt vmcnt(0)
	v_cmp_neq_f64_e32 vcc, s[10:11], v[13:14]
	s_and_saveexec_b64 s[36:37], vcc
	s_cbranch_execz .LBB45_7
; %bb.15:                               ;   in Loop: Header=BB45_10 Depth=1
	v_cmp_o_f64_e32 vcc, v[13:14], v[13:14]
	v_mov_b32_e32 v15, 2
	s_and_saveexec_b64 s[38:39], vcc
	s_cbranch_execz .LBB45_6
; %bb.16:                               ;   in Loop: Header=BB45_10 Depth=1
	s_and_b64 vcc, exec, s[20:21]
	s_cbranch_vccz .LBB45_19
; %bb.17:                               ;   in Loop: Header=BB45_10 Depth=1
	s_and_b64 vcc, exec, s[22:23]
	s_cbranch_vccz .LBB45_20
; %bb.18:                               ;   in Loop: Header=BB45_10 Depth=1
	v_cmp_le_i32_e32 vcc, s33, v16
	s_mov_b32 s13, 7
	s_and_b64 s[2:3], vcc, exec
	s_cbranch_execz .LBB45_21
	s_branch .LBB45_22
.LBB45_19:                              ;   in Loop: Header=BB45_10 Depth=1
	s_mov_b32 s13, 2
	s_branch .LBB45_22
.LBB45_20:                              ;   in Loop: Header=BB45_10 Depth=1
	s_mov_b64 s[2:3], 0
	s_mov_b32 s13, 2
.LBB45_21:                              ;   in Loop: Header=BB45_10 Depth=1
	v_cmp_ge_i32_e32 vcc, s33, v16
	s_andn2_b64 s[2:3], s[2:3], exec
	s_and_b64 s[42:43], vcc, exec
	s_mov_b32 s13, 7
	s_or_b64 s[2:3], s[2:3], s[42:43]
.LBB45_22:                              ;   in Loop: Header=BB45_10 Depth=1
	v_mov_b32_e32 v15, s13
	s_mov_b64 s[44:45], -1
	s_and_saveexec_b64 s[42:43], s[2:3]
	s_cbranch_execz .LBB45_5
; %bb.23:                               ;   in Loop: Header=BB45_10 Depth=1
	s_nor_b64 s[0:1], s[14:15], s[40:41]
	s_mov_b64 s[40:41], -1
	v_mov_b32_e32 v15, s13
	s_and_saveexec_b64 s[46:47], s[0:1]
	s_cbranch_execz .LBB45_25
; %bb.24:                               ;   in Loop: Header=BB45_10 Depth=1
	global_load_dword v13, v[11:12], off offset:-4
	v_mov_b32_e32 v15, 6
	s_waitcnt vmcnt(0)
	v_subrev_u32_e32 v14, s12, v13
	v_cmp_lt_i32_e64 s[0:1], -1, v14
	v_cmp_gt_i32_e64 s[2:3], s17, v14
	s_and_b64 s[0:1], s[0:1], s[2:3]
	v_cmp_gt_i32_e32 vcc, v0, v13
	s_xor_b64 s[0:1], s[0:1], -1
	s_or_b64 s[0:1], vcc, s[0:1]
	s_orn2_b64 s[44:45], s[0:1], exec
.LBB45_25:                              ;   in Loop: Header=BB45_10 Depth=1
	s_or_b64 exec, exec, s[46:47]
	s_mov_b64 s[2:3], -1
	s_and_saveexec_b64 s[0:1], s[44:45]
	s_cbranch_execz .LBB45_4
; %bb.26:                               ;   in Loop: Header=BB45_10 Depth=1
	v_add_co_u32_e32 v5, vcc, 0x100, v5
	v_addc_co_u32_e32 v6, vcc, 0, v6, vcc
	v_add_co_u32_e32 v7, vcc, 0x400, v7
	v_addc_co_u32_e32 v8, vcc, 0, v8, vcc
	;; [unrolled: 2-line block ×4, first 2 shown]
	v_cmp_ge_i64_e32 vcc, v[5:6], v[3:4]
	s_xor_b64 s[2:3], exec, -1
	s_orn2_b64 s[40:41], vcc, exec
	s_branch .LBB45_4
.LBB45_27:
	s_or_b64 exec, exec, s[8:9]
	s_and_b64 s[8:9], s[24:25], exec
.LBB45_28:
	s_or_b64 exec, exec, s[18:19]
	s_orn2_b64 s[10:11], s[8:9], exec
.LBB45_29:
	s_or_b64 exec, exec, s[6:7]
	s_and_b64 exec, exec, s[10:11]
	s_cbranch_execz .LBB45_31
; %bb.30:
	s_load_dwordx2 s[0:1], s[4:5], 0x40
	v_mov_b32_e32 v0, 0
	s_waitcnt lgkmcnt(0)
	global_store_dword v0, v15, s[0:1]
.LBB45_31:
	s_endpgm
	.section	.rodata,"a",@progbits
	.p2align	6, 0x0
	.amdhsa_kernel _ZN9rocsparseL23check_matrix_csr_deviceILj256ELj256EdliEEvT3_S1_T2_PKT1_PKS2_PKS1_S9_21rocsparse_index_base_22rocsparse_matrix_type_20rocsparse_fill_mode_23rocsparse_storage_mode_P22rocsparse_data_status_
		.amdhsa_group_segment_fixed_size 0
		.amdhsa_private_segment_fixed_size 0
		.amdhsa_kernarg_size 72
		.amdhsa_user_sgpr_count 6
		.amdhsa_user_sgpr_private_segment_buffer 1
		.amdhsa_user_sgpr_dispatch_ptr 0
		.amdhsa_user_sgpr_queue_ptr 0
		.amdhsa_user_sgpr_kernarg_segment_ptr 1
		.amdhsa_user_sgpr_dispatch_id 0
		.amdhsa_user_sgpr_flat_scratch_init 0
		.amdhsa_user_sgpr_private_segment_size 0
		.amdhsa_uses_dynamic_stack 0
		.amdhsa_system_sgpr_private_segment_wavefront_offset 0
		.amdhsa_system_sgpr_workgroup_id_x 1
		.amdhsa_system_sgpr_workgroup_id_y 0
		.amdhsa_system_sgpr_workgroup_id_z 0
		.amdhsa_system_sgpr_workgroup_info 0
		.amdhsa_system_vgpr_workitem_id 0
		.amdhsa_next_free_vgpr 18
		.amdhsa_next_free_sgpr 48
		.amdhsa_reserve_vcc 1
		.amdhsa_reserve_flat_scratch 0
		.amdhsa_float_round_mode_32 0
		.amdhsa_float_round_mode_16_64 0
		.amdhsa_float_denorm_mode_32 3
		.amdhsa_float_denorm_mode_16_64 3
		.amdhsa_dx10_clamp 1
		.amdhsa_ieee_mode 1
		.amdhsa_fp16_overflow 0
		.amdhsa_exception_fp_ieee_invalid_op 0
		.amdhsa_exception_fp_denorm_src 0
		.amdhsa_exception_fp_ieee_div_zero 0
		.amdhsa_exception_fp_ieee_overflow 0
		.amdhsa_exception_fp_ieee_underflow 0
		.amdhsa_exception_fp_ieee_inexact 0
		.amdhsa_exception_int_div_zero 0
	.end_amdhsa_kernel
	.section	.text._ZN9rocsparseL23check_matrix_csr_deviceILj256ELj256EdliEEvT3_S1_T2_PKT1_PKS2_PKS1_S9_21rocsparse_index_base_22rocsparse_matrix_type_20rocsparse_fill_mode_23rocsparse_storage_mode_P22rocsparse_data_status_,"axG",@progbits,_ZN9rocsparseL23check_matrix_csr_deviceILj256ELj256EdliEEvT3_S1_T2_PKT1_PKS2_PKS1_S9_21rocsparse_index_base_22rocsparse_matrix_type_20rocsparse_fill_mode_23rocsparse_storage_mode_P22rocsparse_data_status_,comdat
.Lfunc_end45:
	.size	_ZN9rocsparseL23check_matrix_csr_deviceILj256ELj256EdliEEvT3_S1_T2_PKT1_PKS2_PKS1_S9_21rocsparse_index_base_22rocsparse_matrix_type_20rocsparse_fill_mode_23rocsparse_storage_mode_P22rocsparse_data_status_, .Lfunc_end45-_ZN9rocsparseL23check_matrix_csr_deviceILj256ELj256EdliEEvT3_S1_T2_PKT1_PKS2_PKS1_S9_21rocsparse_index_base_22rocsparse_matrix_type_20rocsparse_fill_mode_23rocsparse_storage_mode_P22rocsparse_data_status_
                                        ; -- End function
	.set _ZN9rocsparseL23check_matrix_csr_deviceILj256ELj256EdliEEvT3_S1_T2_PKT1_PKS2_PKS1_S9_21rocsparse_index_base_22rocsparse_matrix_type_20rocsparse_fill_mode_23rocsparse_storage_mode_P22rocsparse_data_status_.num_vgpr, 18
	.set _ZN9rocsparseL23check_matrix_csr_deviceILj256ELj256EdliEEvT3_S1_T2_PKT1_PKS2_PKS1_S9_21rocsparse_index_base_22rocsparse_matrix_type_20rocsparse_fill_mode_23rocsparse_storage_mode_P22rocsparse_data_status_.num_agpr, 0
	.set _ZN9rocsparseL23check_matrix_csr_deviceILj256ELj256EdliEEvT3_S1_T2_PKT1_PKS2_PKS1_S9_21rocsparse_index_base_22rocsparse_matrix_type_20rocsparse_fill_mode_23rocsparse_storage_mode_P22rocsparse_data_status_.numbered_sgpr, 48
	.set _ZN9rocsparseL23check_matrix_csr_deviceILj256ELj256EdliEEvT3_S1_T2_PKT1_PKS2_PKS1_S9_21rocsparse_index_base_22rocsparse_matrix_type_20rocsparse_fill_mode_23rocsparse_storage_mode_P22rocsparse_data_status_.num_named_barrier, 0
	.set _ZN9rocsparseL23check_matrix_csr_deviceILj256ELj256EdliEEvT3_S1_T2_PKT1_PKS2_PKS1_S9_21rocsparse_index_base_22rocsparse_matrix_type_20rocsparse_fill_mode_23rocsparse_storage_mode_P22rocsparse_data_status_.private_seg_size, 0
	.set _ZN9rocsparseL23check_matrix_csr_deviceILj256ELj256EdliEEvT3_S1_T2_PKT1_PKS2_PKS1_S9_21rocsparse_index_base_22rocsparse_matrix_type_20rocsparse_fill_mode_23rocsparse_storage_mode_P22rocsparse_data_status_.uses_vcc, 1
	.set _ZN9rocsparseL23check_matrix_csr_deviceILj256ELj256EdliEEvT3_S1_T2_PKT1_PKS2_PKS1_S9_21rocsparse_index_base_22rocsparse_matrix_type_20rocsparse_fill_mode_23rocsparse_storage_mode_P22rocsparse_data_status_.uses_flat_scratch, 0
	.set _ZN9rocsparseL23check_matrix_csr_deviceILj256ELj256EdliEEvT3_S1_T2_PKT1_PKS2_PKS1_S9_21rocsparse_index_base_22rocsparse_matrix_type_20rocsparse_fill_mode_23rocsparse_storage_mode_P22rocsparse_data_status_.has_dyn_sized_stack, 0
	.set _ZN9rocsparseL23check_matrix_csr_deviceILj256ELj256EdliEEvT3_S1_T2_PKT1_PKS2_PKS1_S9_21rocsparse_index_base_22rocsparse_matrix_type_20rocsparse_fill_mode_23rocsparse_storage_mode_P22rocsparse_data_status_.has_recursion, 0
	.set _ZN9rocsparseL23check_matrix_csr_deviceILj256ELj256EdliEEvT3_S1_T2_PKT1_PKS2_PKS1_S9_21rocsparse_index_base_22rocsparse_matrix_type_20rocsparse_fill_mode_23rocsparse_storage_mode_P22rocsparse_data_status_.has_indirect_call, 0
	.section	.AMDGPU.csdata,"",@progbits
; Kernel info:
; codeLenInByte = 916
; TotalNumSgprs: 52
; NumVgprs: 18
; ScratchSize: 0
; MemoryBound: 0
; FloatMode: 240
; IeeeMode: 1
; LDSByteSize: 0 bytes/workgroup (compile time only)
; SGPRBlocks: 6
; VGPRBlocks: 4
; NumSGPRsForWavesPerEU: 52
; NumVGPRsForWavesPerEU: 18
; Occupancy: 10
; WaveLimiterHint : 0
; COMPUTE_PGM_RSRC2:SCRATCH_EN: 0
; COMPUTE_PGM_RSRC2:USER_SGPR: 6
; COMPUTE_PGM_RSRC2:TRAP_HANDLER: 0
; COMPUTE_PGM_RSRC2:TGID_X_EN: 1
; COMPUTE_PGM_RSRC2:TGID_Y_EN: 0
; COMPUTE_PGM_RSRC2:TGID_Z_EN: 0
; COMPUTE_PGM_RSRC2:TIDIG_COMP_CNT: 0
	.section	.text._ZN9rocsparseL23check_matrix_csr_deviceILj256ELj4E21rocsparse_complex_numIfEliEEvT3_S3_T2_PKT1_PKS4_PKS3_SB_21rocsparse_index_base_22rocsparse_matrix_type_20rocsparse_fill_mode_23rocsparse_storage_mode_P22rocsparse_data_status_,"axG",@progbits,_ZN9rocsparseL23check_matrix_csr_deviceILj256ELj4E21rocsparse_complex_numIfEliEEvT3_S3_T2_PKT1_PKS4_PKS3_SB_21rocsparse_index_base_22rocsparse_matrix_type_20rocsparse_fill_mode_23rocsparse_storage_mode_P22rocsparse_data_status_,comdat
	.globl	_ZN9rocsparseL23check_matrix_csr_deviceILj256ELj4E21rocsparse_complex_numIfEliEEvT3_S3_T2_PKT1_PKS4_PKS3_SB_21rocsparse_index_base_22rocsparse_matrix_type_20rocsparse_fill_mode_23rocsparse_storage_mode_P22rocsparse_data_status_ ; -- Begin function _ZN9rocsparseL23check_matrix_csr_deviceILj256ELj4E21rocsparse_complex_numIfEliEEvT3_S3_T2_PKT1_PKS4_PKS3_SB_21rocsparse_index_base_22rocsparse_matrix_type_20rocsparse_fill_mode_23rocsparse_storage_mode_P22rocsparse_data_status_
	.p2align	8
	.type	_ZN9rocsparseL23check_matrix_csr_deviceILj256ELj4E21rocsparse_complex_numIfEliEEvT3_S3_T2_PKT1_PKS4_PKS3_SB_21rocsparse_index_base_22rocsparse_matrix_type_20rocsparse_fill_mode_23rocsparse_storage_mode_P22rocsparse_data_status_,@function
_ZN9rocsparseL23check_matrix_csr_deviceILj256ELj4E21rocsparse_complex_numIfEliEEvT3_S3_T2_PKT1_PKS4_PKS3_SB_21rocsparse_index_base_22rocsparse_matrix_type_20rocsparse_fill_mode_23rocsparse_storage_mode_P22rocsparse_data_status_: ; @_ZN9rocsparseL23check_matrix_csr_deviceILj256ELj4E21rocsparse_complex_numIfEliEEvT3_S3_T2_PKT1_PKS4_PKS3_SB_21rocsparse_index_base_22rocsparse_matrix_type_20rocsparse_fill_mode_23rocsparse_storage_mode_P22rocsparse_data_status_
; %bb.0:
	s_load_dwordx2 s[16:17], s[4:5], 0x0
	v_lshl_or_b32 v1, s6, 8, v0
	v_lshrrev_b32_e32 v1, 2, v1
	s_waitcnt lgkmcnt(0)
	v_cmp_gt_i32_e32 vcc, s16, v1
	s_and_saveexec_b64 s[0:1], vcc
	s_cbranch_execz .LBB46_31
; %bb.1:
	s_load_dwordx2 s[0:1], s[4:5], 0x18
	v_mov_b32_e32 v2, 0
	v_lshlrev_b64 v[2:3], 3, v[1:2]
	v_mov_b32_e32 v16, 3
	s_mov_b64 s[10:11], -1
	s_waitcnt lgkmcnt(0)
	v_mov_b32_e32 v4, s1
	v_add_co_u32_e32 v2, vcc, s0, v2
	v_addc_co_u32_e32 v3, vcc, v4, v3, vcc
	global_load_dwordx4 v[6:9], v[2:3], off
	s_load_dwordx2 s[0:1], s[0:1], 0x0
	s_mov_b64 s[8:9], 0
	s_waitcnt lgkmcnt(0)
	v_mov_b32_e32 v5, s1
	s_waitcnt vmcnt(0)
	v_subrev_co_u32_e32 v2, vcc, s0, v6
	v_subb_co_u32_e32 v3, vcc, v7, v5, vcc
	v_subrev_co_u32_e32 v4, vcc, s0, v8
	v_subb_co_u32_e32 v5, vcc, v9, v5, vcc
	v_cmp_gt_i64_e64 s[0:1], 0, v[4:5]
	v_cmp_lt_i64_e64 s[2:3], v[8:9], v[6:7]
	v_cmp_lt_i64_e32 vcc, -1, v[2:3]
	s_or_b64 s[0:1], s[0:1], s[2:3]
	s_xor_b64 s[0:1], s[0:1], -1
	s_and_b64 s[0:1], vcc, s[0:1]
	s_and_saveexec_b64 s[6:7], s[0:1]
	s_cbranch_execz .LBB46_29
; %bb.2:
	v_and_b32_e32 v0, 3, v0
	v_add_co_u32_e32 v6, vcc, v2, v0
	v_addc_co_u32_e32 v7, vcc, 0, v3, vcc
	v_cmp_lt_u64_e32 vcc, v[6:7], v[4:5]
	v_mov_b32_e32 v16, 3
	s_and_saveexec_b64 s[18:19], vcc
	s_cbranch_execz .LBB46_28
; %bb.3:
	s_load_dwordx8 s[8:15], s[4:5], 0x20
	s_load_dwordx2 s[0:1], s[4:5], 0x10
	v_lshlrev_b64 v[8:9], 2, v[6:7]
                                        ; implicit-def: $sgpr24_sgpr25
                                        ; implicit-def: $sgpr26_sgpr27
	v_add_co_u32_e32 v0, vcc, -4, v8
	v_addc_co_u32_e32 v11, vcc, -1, v9, vcc
	s_waitcnt lgkmcnt(0)
	v_mov_b32_e32 v9, s11
	v_add_co_u32_e32 v8, vcc, s10, v0
	v_addc_co_u32_e32 v9, vcc, v9, v11, vcc
	v_mov_b32_e32 v12, s9
	v_add_co_u32_e32 v10, vcc, s8, v0
	v_addc_co_u32_e32 v11, vcc, v12, v11, vcc
	v_lshlrev_b64 v[12:13], 3, v[6:7]
	s_cmp_lg_u32 s13, 0
	v_mov_b32_e32 v0, s1
	v_add_co_u32_e32 v12, vcc, s0, v12
	s_cselect_b64 s[20:21], -1, 0
	s_cmp_lg_u32 s14, 0
	v_addc_co_u32_e32 v0, vcc, v0, v13, vcc
	s_cselect_b64 s[22:23], -1, 0
	s_cmp_lg_u32 s15, 0
	v_add_co_u32_e32 v12, vcc, 4, v12
	s_cselect_b64 s[14:15], -1, 0
	v_addc_co_u32_e32 v13, vcc, 0, v0, vcc
	s_mov_b64 s[8:9], 0
	s_mov_b32 s13, 0x7f800000
                                        ; implicit-def: $sgpr10_sgpr11
	s_branch .LBB46_10
.LBB46_4:                               ;   in Loop: Header=BB46_10 Depth=1
	s_or_b64 exec, exec, s[0:1]
	s_orn2_b64 s[42:43], s[2:3], exec
	s_orn2_b64 s[0:1], s[38:39], exec
.LBB46_5:                               ;   in Loop: Header=BB46_10 Depth=1
	s_or_b64 exec, exec, s[40:41]
	s_orn2_b64 s[2:3], s[42:43], exec
	s_orn2_b64 s[0:1], s[0:1], exec
.LBB46_6:                               ;   in Loop: Header=BB46_10 Depth=1
	s_or_b64 exec, exec, s[36:37]
	s_orn2_b64 s[36:37], s[2:3], exec
	s_orn2_b64 s[2:3], s[0:1], exec
.LBB46_7:                               ;   in Loop: Header=BB46_10 Depth=1
	s_or_b64 exec, exec, s[34:35]
	s_orn2_b64 s[34:35], s[36:37], exec
	s_orn2_b64 s[0:1], s[2:3], exec
.LBB46_8:                               ;   in Loop: Header=BB46_10 Depth=1
	s_or_b64 exec, exec, s[30:31]
	s_andn2_b64 s[2:3], s[26:27], exec
	s_and_b64 s[26:27], s[34:35], exec
	s_or_b64 s[26:27], s[2:3], s[26:27]
	s_andn2_b64 s[2:3], s[24:25], exec
	s_and_b64 s[0:1], s[0:1], exec
	s_or_b64 s[24:25], s[2:3], s[0:1]
.LBB46_9:                               ;   in Loop: Header=BB46_10 Depth=1
	s_or_b64 exec, exec, s[28:29]
	s_and_b64 s[0:1], exec, s[24:25]
	s_or_b64 s[8:9], s[0:1], s[8:9]
	s_andn2_b64 s[0:1], s[10:11], exec
	s_and_b64 s[2:3], s[26:27], exec
	s_or_b64 s[10:11], s[0:1], s[2:3]
	s_andn2_b64 exec, exec, s[8:9]
	s_cbranch_execz .LBB46_27
.LBB46_10:                              ; =>This Inner Loop Header: Depth=1
	global_load_dword v0, v[10:11], off offset:4
	v_mov_b32_e32 v16, 4
	s_or_b64 s[26:27], s[26:27], exec
	s_or_b64 s[24:25], s[24:25], exec
	s_waitcnt vmcnt(0)
	v_subrev_u32_e32 v17, s12, v0
	v_cmp_lt_i32_e32 vcc, -1, v17
	v_cmp_gt_i32_e64 s[0:1], s17, v17
	s_and_b64 s[0:1], vcc, s[0:1]
	s_and_saveexec_b64 s[28:29], s[0:1]
	s_cbranch_execz .LBB46_9
; %bb.11:                               ;   in Loop: Header=BB46_10 Depth=1
	v_cmp_le_i64_e64 s[38:39], v[6:7], v[2:3]
	v_cmp_gt_i64_e32 vcc, v[6:7], v[2:3]
	v_mov_b32_e32 v16, 4
	s_mov_b64 s[2:3], s[38:39]
	s_and_saveexec_b64 s[30:31], vcc
	s_cbranch_execz .LBB46_13
; %bb.12:                               ;   in Loop: Header=BB46_10 Depth=1
	global_load_dwordx2 v[14:15], v[8:9], off
	v_mov_b32_e32 v16, 5
	s_waitcnt vmcnt(0)
	v_subrev_u32_e32 v18, s12, v14
	v_cmp_lt_i32_e64 s[0:1], -1, v18
	v_cmp_gt_i32_e64 s[2:3], s17, v18
	s_and_b64 s[0:1], s[0:1], s[2:3]
	v_cmp_ne_u32_e32 vcc, v15, v14
	s_xor_b64 s[0:1], s[0:1], -1
	s_or_b64 s[0:1], vcc, s[0:1]
	s_andn2_b64 s[2:3], s[38:39], exec
	s_and_b64 s[0:1], s[0:1], exec
	s_or_b64 s[2:3], s[2:3], s[0:1]
.LBB46_13:                              ;   in Loop: Header=BB46_10 Depth=1
	s_or_b64 exec, exec, s[30:31]
	s_mov_b64 s[0:1], -1
	s_mov_b64 s[34:35], -1
	s_and_saveexec_b64 s[30:31], s[2:3]
	s_cbranch_execz .LBB46_8
; %bb.14:                               ;   in Loop: Header=BB46_10 Depth=1
	global_load_dwordx2 v[14:15], v[12:13], off offset:-4
	v_mov_b32_e32 v16, 1
	s_mov_b64 s[2:3], -1
	s_mov_b64 s[36:37], -1
	s_waitcnt vmcnt(0)
	v_cmp_neq_f32_e32 vcc, s13, v14
	v_cmp_neq_f32_e64 s[0:1], s13, v15
	s_and_b64 s[0:1], vcc, s[0:1]
	s_and_saveexec_b64 s[34:35], s[0:1]
	s_cbranch_execz .LBB46_7
; %bb.15:                               ;   in Loop: Header=BB46_10 Depth=1
	v_cmp_o_f32_e32 vcc, v14, v15
	v_mov_b32_e32 v16, 2
	s_mov_b64 s[0:1], -1
	s_and_saveexec_b64 s[36:37], vcc
	s_cbranch_execz .LBB46_6
; %bb.16:                               ;   in Loop: Header=BB46_10 Depth=1
	s_and_b64 vcc, exec, s[20:21]
	s_cbranch_vccz .LBB46_19
; %bb.17:                               ;   in Loop: Header=BB46_10 Depth=1
	s_and_b64 vcc, exec, s[22:23]
	s_cbranch_vccz .LBB46_20
; %bb.18:                               ;   in Loop: Header=BB46_10 Depth=1
	v_cmp_le_i32_e32 vcc, v1, v17
	s_mov_b32 s16, 7
	s_and_b64 s[2:3], vcc, exec
	s_cbranch_execz .LBB46_21
	s_branch .LBB46_22
.LBB46_19:                              ;   in Loop: Header=BB46_10 Depth=1
	s_mov_b32 s16, 2
	s_branch .LBB46_22
.LBB46_20:                              ;   in Loop: Header=BB46_10 Depth=1
	s_mov_b64 s[2:3], 0
	s_mov_b32 s16, 2
.LBB46_21:                              ;   in Loop: Header=BB46_10 Depth=1
	v_cmp_ge_i32_e32 vcc, v1, v17
	s_andn2_b64 s[2:3], s[2:3], exec
	s_and_b64 s[40:41], vcc, exec
	s_mov_b32 s16, 7
	s_or_b64 s[2:3], s[2:3], s[40:41]
.LBB46_22:                              ;   in Loop: Header=BB46_10 Depth=1
	v_mov_b32_e32 v16, s16
	s_mov_b64 s[42:43], -1
	s_and_saveexec_b64 s[40:41], s[2:3]
	s_cbranch_execz .LBB46_5
; %bb.23:                               ;   in Loop: Header=BB46_10 Depth=1
	s_nor_b64 s[0:1], s[14:15], s[38:39]
	s_mov_b64 s[38:39], -1
	v_mov_b32_e32 v16, s16
	s_and_saveexec_b64 s[44:45], s[0:1]
	s_cbranch_execz .LBB46_25
; %bb.24:                               ;   in Loop: Header=BB46_10 Depth=1
	global_load_dword v14, v[10:11], off
	v_mov_b32_e32 v16, 6
	s_waitcnt vmcnt(0)
	v_subrev_u32_e32 v15, s12, v14
	v_cmp_lt_i32_e64 s[0:1], -1, v15
	v_cmp_gt_i32_e64 s[2:3], s17, v15
	s_and_b64 s[0:1], s[0:1], s[2:3]
	v_cmp_gt_i32_e32 vcc, v0, v14
	s_xor_b64 s[0:1], s[0:1], -1
	s_or_b64 s[0:1], vcc, s[0:1]
	s_orn2_b64 s[42:43], s[0:1], exec
.LBB46_25:                              ;   in Loop: Header=BB46_10 Depth=1
	s_or_b64 exec, exec, s[44:45]
	s_mov_b64 s[2:3], -1
	s_and_saveexec_b64 s[0:1], s[42:43]
	s_cbranch_execz .LBB46_4
; %bb.26:                               ;   in Loop: Header=BB46_10 Depth=1
	v_add_co_u32_e32 v6, vcc, 4, v6
	v_addc_co_u32_e32 v7, vcc, 0, v7, vcc
	v_add_co_u32_e32 v8, vcc, 16, v8
	v_addc_co_u32_e32 v9, vcc, 0, v9, vcc
	;; [unrolled: 2-line block ×4, first 2 shown]
	v_cmp_ge_i64_e32 vcc, v[6:7], v[4:5]
	s_xor_b64 s[2:3], exec, -1
	s_orn2_b64 s[38:39], vcc, exec
	s_branch .LBB46_4
.LBB46_27:
	s_or_b64 exec, exec, s[8:9]
	s_and_b64 s[8:9], s[10:11], exec
.LBB46_28:
	s_or_b64 exec, exec, s[18:19]
	s_orn2_b64 s[10:11], s[8:9], exec
.LBB46_29:
	s_or_b64 exec, exec, s[6:7]
	s_and_b64 exec, exec, s[10:11]
	s_cbranch_execz .LBB46_31
; %bb.30:
	s_load_dwordx2 s[0:1], s[4:5], 0x40
	v_mov_b32_e32 v0, 0
	s_waitcnt lgkmcnt(0)
	global_store_dword v0, v16, s[0:1]
.LBB46_31:
	s_endpgm
	.section	.rodata,"a",@progbits
	.p2align	6, 0x0
	.amdhsa_kernel _ZN9rocsparseL23check_matrix_csr_deviceILj256ELj4E21rocsparse_complex_numIfEliEEvT3_S3_T2_PKT1_PKS4_PKS3_SB_21rocsparse_index_base_22rocsparse_matrix_type_20rocsparse_fill_mode_23rocsparse_storage_mode_P22rocsparse_data_status_
		.amdhsa_group_segment_fixed_size 0
		.amdhsa_private_segment_fixed_size 0
		.amdhsa_kernarg_size 72
		.amdhsa_user_sgpr_count 6
		.amdhsa_user_sgpr_private_segment_buffer 1
		.amdhsa_user_sgpr_dispatch_ptr 0
		.amdhsa_user_sgpr_queue_ptr 0
		.amdhsa_user_sgpr_kernarg_segment_ptr 1
		.amdhsa_user_sgpr_dispatch_id 0
		.amdhsa_user_sgpr_flat_scratch_init 0
		.amdhsa_user_sgpr_private_segment_size 0
		.amdhsa_uses_dynamic_stack 0
		.amdhsa_system_sgpr_private_segment_wavefront_offset 0
		.amdhsa_system_sgpr_workgroup_id_x 1
		.amdhsa_system_sgpr_workgroup_id_y 0
		.amdhsa_system_sgpr_workgroup_id_z 0
		.amdhsa_system_sgpr_workgroup_info 0
		.amdhsa_system_vgpr_workitem_id 0
		.amdhsa_next_free_vgpr 19
		.amdhsa_next_free_sgpr 46
		.amdhsa_reserve_vcc 1
		.amdhsa_reserve_flat_scratch 0
		.amdhsa_float_round_mode_32 0
		.amdhsa_float_round_mode_16_64 0
		.amdhsa_float_denorm_mode_32 3
		.amdhsa_float_denorm_mode_16_64 3
		.amdhsa_dx10_clamp 1
		.amdhsa_ieee_mode 1
		.amdhsa_fp16_overflow 0
		.amdhsa_exception_fp_ieee_invalid_op 0
		.amdhsa_exception_fp_denorm_src 0
		.amdhsa_exception_fp_ieee_div_zero 0
		.amdhsa_exception_fp_ieee_overflow 0
		.amdhsa_exception_fp_ieee_underflow 0
		.amdhsa_exception_fp_ieee_inexact 0
		.amdhsa_exception_int_div_zero 0
	.end_amdhsa_kernel
	.section	.text._ZN9rocsparseL23check_matrix_csr_deviceILj256ELj4E21rocsparse_complex_numIfEliEEvT3_S3_T2_PKT1_PKS4_PKS3_SB_21rocsparse_index_base_22rocsparse_matrix_type_20rocsparse_fill_mode_23rocsparse_storage_mode_P22rocsparse_data_status_,"axG",@progbits,_ZN9rocsparseL23check_matrix_csr_deviceILj256ELj4E21rocsparse_complex_numIfEliEEvT3_S3_T2_PKT1_PKS4_PKS3_SB_21rocsparse_index_base_22rocsparse_matrix_type_20rocsparse_fill_mode_23rocsparse_storage_mode_P22rocsparse_data_status_,comdat
.Lfunc_end46:
	.size	_ZN9rocsparseL23check_matrix_csr_deviceILj256ELj4E21rocsparse_complex_numIfEliEEvT3_S3_T2_PKT1_PKS4_PKS3_SB_21rocsparse_index_base_22rocsparse_matrix_type_20rocsparse_fill_mode_23rocsparse_storage_mode_P22rocsparse_data_status_, .Lfunc_end46-_ZN9rocsparseL23check_matrix_csr_deviceILj256ELj4E21rocsparse_complex_numIfEliEEvT3_S3_T2_PKT1_PKS4_PKS3_SB_21rocsparse_index_base_22rocsparse_matrix_type_20rocsparse_fill_mode_23rocsparse_storage_mode_P22rocsparse_data_status_
                                        ; -- End function
	.set _ZN9rocsparseL23check_matrix_csr_deviceILj256ELj4E21rocsparse_complex_numIfEliEEvT3_S3_T2_PKT1_PKS4_PKS3_SB_21rocsparse_index_base_22rocsparse_matrix_type_20rocsparse_fill_mode_23rocsparse_storage_mode_P22rocsparse_data_status_.num_vgpr, 19
	.set _ZN9rocsparseL23check_matrix_csr_deviceILj256ELj4E21rocsparse_complex_numIfEliEEvT3_S3_T2_PKT1_PKS4_PKS3_SB_21rocsparse_index_base_22rocsparse_matrix_type_20rocsparse_fill_mode_23rocsparse_storage_mode_P22rocsparse_data_status_.num_agpr, 0
	.set _ZN9rocsparseL23check_matrix_csr_deviceILj256ELj4E21rocsparse_complex_numIfEliEEvT3_S3_T2_PKT1_PKS4_PKS3_SB_21rocsparse_index_base_22rocsparse_matrix_type_20rocsparse_fill_mode_23rocsparse_storage_mode_P22rocsparse_data_status_.numbered_sgpr, 46
	.set _ZN9rocsparseL23check_matrix_csr_deviceILj256ELj4E21rocsparse_complex_numIfEliEEvT3_S3_T2_PKT1_PKS4_PKS3_SB_21rocsparse_index_base_22rocsparse_matrix_type_20rocsparse_fill_mode_23rocsparse_storage_mode_P22rocsparse_data_status_.num_named_barrier, 0
	.set _ZN9rocsparseL23check_matrix_csr_deviceILj256ELj4E21rocsparse_complex_numIfEliEEvT3_S3_T2_PKT1_PKS4_PKS3_SB_21rocsparse_index_base_22rocsparse_matrix_type_20rocsparse_fill_mode_23rocsparse_storage_mode_P22rocsparse_data_status_.private_seg_size, 0
	.set _ZN9rocsparseL23check_matrix_csr_deviceILj256ELj4E21rocsparse_complex_numIfEliEEvT3_S3_T2_PKT1_PKS4_PKS3_SB_21rocsparse_index_base_22rocsparse_matrix_type_20rocsparse_fill_mode_23rocsparse_storage_mode_P22rocsparse_data_status_.uses_vcc, 1
	.set _ZN9rocsparseL23check_matrix_csr_deviceILj256ELj4E21rocsparse_complex_numIfEliEEvT3_S3_T2_PKT1_PKS4_PKS3_SB_21rocsparse_index_base_22rocsparse_matrix_type_20rocsparse_fill_mode_23rocsparse_storage_mode_P22rocsparse_data_status_.uses_flat_scratch, 0
	.set _ZN9rocsparseL23check_matrix_csr_deviceILj256ELj4E21rocsparse_complex_numIfEliEEvT3_S3_T2_PKT1_PKS4_PKS3_SB_21rocsparse_index_base_22rocsparse_matrix_type_20rocsparse_fill_mode_23rocsparse_storage_mode_P22rocsparse_data_status_.has_dyn_sized_stack, 0
	.set _ZN9rocsparseL23check_matrix_csr_deviceILj256ELj4E21rocsparse_complex_numIfEliEEvT3_S3_T2_PKT1_PKS4_PKS3_SB_21rocsparse_index_base_22rocsparse_matrix_type_20rocsparse_fill_mode_23rocsparse_storage_mode_P22rocsparse_data_status_.has_recursion, 0
	.set _ZN9rocsparseL23check_matrix_csr_deviceILj256ELj4E21rocsparse_complex_numIfEliEEvT3_S3_T2_PKT1_PKS4_PKS3_SB_21rocsparse_index_base_22rocsparse_matrix_type_20rocsparse_fill_mode_23rocsparse_storage_mode_P22rocsparse_data_status_.has_indirect_call, 0
	.section	.AMDGPU.csdata,"",@progbits
; Kernel info:
; codeLenInByte = 948
; TotalNumSgprs: 50
; NumVgprs: 19
; ScratchSize: 0
; MemoryBound: 0
; FloatMode: 240
; IeeeMode: 1
; LDSByteSize: 0 bytes/workgroup (compile time only)
; SGPRBlocks: 6
; VGPRBlocks: 4
; NumSGPRsForWavesPerEU: 50
; NumVGPRsForWavesPerEU: 19
; Occupancy: 10
; WaveLimiterHint : 0
; COMPUTE_PGM_RSRC2:SCRATCH_EN: 0
; COMPUTE_PGM_RSRC2:USER_SGPR: 6
; COMPUTE_PGM_RSRC2:TRAP_HANDLER: 0
; COMPUTE_PGM_RSRC2:TGID_X_EN: 1
; COMPUTE_PGM_RSRC2:TGID_Y_EN: 0
; COMPUTE_PGM_RSRC2:TGID_Z_EN: 0
; COMPUTE_PGM_RSRC2:TIDIG_COMP_CNT: 0
	.section	.text._ZN9rocsparseL23check_matrix_csr_deviceILj256ELj8E21rocsparse_complex_numIfEliEEvT3_S3_T2_PKT1_PKS4_PKS3_SB_21rocsparse_index_base_22rocsparse_matrix_type_20rocsparse_fill_mode_23rocsparse_storage_mode_P22rocsparse_data_status_,"axG",@progbits,_ZN9rocsparseL23check_matrix_csr_deviceILj256ELj8E21rocsparse_complex_numIfEliEEvT3_S3_T2_PKT1_PKS4_PKS3_SB_21rocsparse_index_base_22rocsparse_matrix_type_20rocsparse_fill_mode_23rocsparse_storage_mode_P22rocsparse_data_status_,comdat
	.globl	_ZN9rocsparseL23check_matrix_csr_deviceILj256ELj8E21rocsparse_complex_numIfEliEEvT3_S3_T2_PKT1_PKS4_PKS3_SB_21rocsparse_index_base_22rocsparse_matrix_type_20rocsparse_fill_mode_23rocsparse_storage_mode_P22rocsparse_data_status_ ; -- Begin function _ZN9rocsparseL23check_matrix_csr_deviceILj256ELj8E21rocsparse_complex_numIfEliEEvT3_S3_T2_PKT1_PKS4_PKS3_SB_21rocsparse_index_base_22rocsparse_matrix_type_20rocsparse_fill_mode_23rocsparse_storage_mode_P22rocsparse_data_status_
	.p2align	8
	.type	_ZN9rocsparseL23check_matrix_csr_deviceILj256ELj8E21rocsparse_complex_numIfEliEEvT3_S3_T2_PKT1_PKS4_PKS3_SB_21rocsparse_index_base_22rocsparse_matrix_type_20rocsparse_fill_mode_23rocsparse_storage_mode_P22rocsparse_data_status_,@function
_ZN9rocsparseL23check_matrix_csr_deviceILj256ELj8E21rocsparse_complex_numIfEliEEvT3_S3_T2_PKT1_PKS4_PKS3_SB_21rocsparse_index_base_22rocsparse_matrix_type_20rocsparse_fill_mode_23rocsparse_storage_mode_P22rocsparse_data_status_: ; @_ZN9rocsparseL23check_matrix_csr_deviceILj256ELj8E21rocsparse_complex_numIfEliEEvT3_S3_T2_PKT1_PKS4_PKS3_SB_21rocsparse_index_base_22rocsparse_matrix_type_20rocsparse_fill_mode_23rocsparse_storage_mode_P22rocsparse_data_status_
; %bb.0:
	s_load_dwordx2 s[16:17], s[4:5], 0x0
	v_lshl_or_b32 v1, s6, 8, v0
	v_lshrrev_b32_e32 v15, 3, v1
	s_waitcnt lgkmcnt(0)
	v_cmp_gt_i32_e32 vcc, s16, v15
	s_and_saveexec_b64 s[0:1], vcc
	s_cbranch_execz .LBB47_31
; %bb.1:
	s_load_dwordx2 s[0:1], s[4:5], 0x18
	v_lshlrev_b32_e32 v1, 3, v15
	v_mov_b32_e32 v16, 3
	s_mov_b64 s[10:11], -1
	s_mov_b64 s[8:9], 0
	s_waitcnt lgkmcnt(0)
	global_load_dwordx4 v[5:8], v1, s[0:1]
	s_load_dwordx2 s[0:1], s[0:1], 0x0
	s_waitcnt lgkmcnt(0)
	v_mov_b32_e32 v4, s1
	s_waitcnt vmcnt(0)
	v_subrev_co_u32_e32 v1, vcc, s0, v5
	v_subb_co_u32_e32 v2, vcc, v6, v4, vcc
	v_subrev_co_u32_e32 v3, vcc, s0, v7
	v_subb_co_u32_e32 v4, vcc, v8, v4, vcc
	v_cmp_gt_i64_e64 s[0:1], 0, v[3:4]
	v_cmp_lt_i64_e64 s[2:3], v[7:8], v[5:6]
	v_cmp_lt_i64_e32 vcc, -1, v[1:2]
	s_or_b64 s[0:1], s[0:1], s[2:3]
	s_xor_b64 s[0:1], s[0:1], -1
	s_and_b64 s[0:1], vcc, s[0:1]
	s_and_saveexec_b64 s[6:7], s[0:1]
	s_cbranch_execz .LBB47_29
; %bb.2:
	v_and_b32_e32 v0, 7, v0
	v_add_co_u32_e32 v5, vcc, v1, v0
	v_addc_co_u32_e32 v6, vcc, 0, v2, vcc
	v_cmp_lt_u64_e32 vcc, v[5:6], v[3:4]
	v_mov_b32_e32 v16, 3
	s_and_saveexec_b64 s[18:19], vcc
	s_cbranch_execz .LBB47_28
; %bb.3:
	s_load_dwordx8 s[8:15], s[4:5], 0x20
	s_load_dwordx2 s[0:1], s[4:5], 0x10
	v_lshlrev_b64 v[7:8], 2, v[5:6]
                                        ; implicit-def: $sgpr24_sgpr25
                                        ; implicit-def: $sgpr26_sgpr27
	v_add_co_u32_e32 v0, vcc, -4, v7
	v_addc_co_u32_e32 v10, vcc, -1, v8, vcc
	s_waitcnt lgkmcnt(0)
	v_mov_b32_e32 v8, s11
	v_add_co_u32_e32 v7, vcc, s10, v0
	v_addc_co_u32_e32 v8, vcc, v8, v10, vcc
	v_mov_b32_e32 v11, s9
	v_add_co_u32_e32 v9, vcc, s8, v0
	v_addc_co_u32_e32 v10, vcc, v11, v10, vcc
	v_lshlrev_b64 v[11:12], 3, v[5:6]
	s_cmp_lg_u32 s13, 0
	v_mov_b32_e32 v0, s1
	v_add_co_u32_e32 v11, vcc, s0, v11
	s_cselect_b64 s[20:21], -1, 0
	s_cmp_lg_u32 s14, 0
	v_addc_co_u32_e32 v0, vcc, v0, v12, vcc
	s_cselect_b64 s[22:23], -1, 0
	s_cmp_lg_u32 s15, 0
	v_add_co_u32_e32 v11, vcc, 4, v11
	s_cselect_b64 s[14:15], -1, 0
	v_addc_co_u32_e32 v12, vcc, 0, v0, vcc
	s_mov_b64 s[8:9], 0
	s_mov_b32 s13, 0x7f800000
                                        ; implicit-def: $sgpr10_sgpr11
	s_branch .LBB47_10
.LBB47_4:                               ;   in Loop: Header=BB47_10 Depth=1
	s_or_b64 exec, exec, s[0:1]
	s_orn2_b64 s[42:43], s[2:3], exec
	s_orn2_b64 s[0:1], s[38:39], exec
.LBB47_5:                               ;   in Loop: Header=BB47_10 Depth=1
	s_or_b64 exec, exec, s[40:41]
	s_orn2_b64 s[2:3], s[42:43], exec
	s_orn2_b64 s[0:1], s[0:1], exec
.LBB47_6:                               ;   in Loop: Header=BB47_10 Depth=1
	s_or_b64 exec, exec, s[36:37]
	s_orn2_b64 s[36:37], s[2:3], exec
	s_orn2_b64 s[2:3], s[0:1], exec
.LBB47_7:                               ;   in Loop: Header=BB47_10 Depth=1
	s_or_b64 exec, exec, s[34:35]
	s_orn2_b64 s[34:35], s[36:37], exec
	s_orn2_b64 s[0:1], s[2:3], exec
.LBB47_8:                               ;   in Loop: Header=BB47_10 Depth=1
	s_or_b64 exec, exec, s[30:31]
	s_andn2_b64 s[2:3], s[26:27], exec
	s_and_b64 s[26:27], s[34:35], exec
	s_or_b64 s[26:27], s[2:3], s[26:27]
	s_andn2_b64 s[2:3], s[24:25], exec
	s_and_b64 s[0:1], s[0:1], exec
	s_or_b64 s[24:25], s[2:3], s[0:1]
.LBB47_9:                               ;   in Loop: Header=BB47_10 Depth=1
	s_or_b64 exec, exec, s[28:29]
	s_and_b64 s[0:1], exec, s[24:25]
	s_or_b64 s[8:9], s[0:1], s[8:9]
	s_andn2_b64 s[0:1], s[10:11], exec
	s_and_b64 s[2:3], s[26:27], exec
	s_or_b64 s[10:11], s[0:1], s[2:3]
	s_andn2_b64 exec, exec, s[8:9]
	s_cbranch_execz .LBB47_27
.LBB47_10:                              ; =>This Inner Loop Header: Depth=1
	global_load_dword v0, v[9:10], off offset:4
	v_mov_b32_e32 v16, 4
	s_or_b64 s[26:27], s[26:27], exec
	s_or_b64 s[24:25], s[24:25], exec
	s_waitcnt vmcnt(0)
	v_subrev_u32_e32 v17, s12, v0
	v_cmp_lt_i32_e32 vcc, -1, v17
	v_cmp_gt_i32_e64 s[0:1], s17, v17
	s_and_b64 s[0:1], vcc, s[0:1]
	s_and_saveexec_b64 s[28:29], s[0:1]
	s_cbranch_execz .LBB47_9
; %bb.11:                               ;   in Loop: Header=BB47_10 Depth=1
	v_cmp_le_i64_e64 s[38:39], v[5:6], v[1:2]
	v_cmp_gt_i64_e32 vcc, v[5:6], v[1:2]
	v_mov_b32_e32 v16, 4
	s_mov_b64 s[2:3], s[38:39]
	s_and_saveexec_b64 s[30:31], vcc
	s_cbranch_execz .LBB47_13
; %bb.12:                               ;   in Loop: Header=BB47_10 Depth=1
	global_load_dwordx2 v[13:14], v[7:8], off
	v_mov_b32_e32 v16, 5
	s_waitcnt vmcnt(0)
	v_subrev_u32_e32 v18, s12, v13
	v_cmp_lt_i32_e64 s[0:1], -1, v18
	v_cmp_gt_i32_e64 s[2:3], s17, v18
	s_and_b64 s[0:1], s[0:1], s[2:3]
	v_cmp_ne_u32_e32 vcc, v14, v13
	s_xor_b64 s[0:1], s[0:1], -1
	s_or_b64 s[0:1], vcc, s[0:1]
	s_andn2_b64 s[2:3], s[38:39], exec
	s_and_b64 s[0:1], s[0:1], exec
	s_or_b64 s[2:3], s[2:3], s[0:1]
.LBB47_13:                              ;   in Loop: Header=BB47_10 Depth=1
	s_or_b64 exec, exec, s[30:31]
	s_mov_b64 s[0:1], -1
	s_mov_b64 s[34:35], -1
	s_and_saveexec_b64 s[30:31], s[2:3]
	s_cbranch_execz .LBB47_8
; %bb.14:                               ;   in Loop: Header=BB47_10 Depth=1
	global_load_dwordx2 v[13:14], v[11:12], off offset:-4
	v_mov_b32_e32 v16, 1
	s_mov_b64 s[2:3], -1
	s_mov_b64 s[36:37], -1
	s_waitcnt vmcnt(0)
	v_cmp_neq_f32_e32 vcc, s13, v13
	v_cmp_neq_f32_e64 s[0:1], s13, v14
	s_and_b64 s[0:1], vcc, s[0:1]
	s_and_saveexec_b64 s[34:35], s[0:1]
	s_cbranch_execz .LBB47_7
; %bb.15:                               ;   in Loop: Header=BB47_10 Depth=1
	v_cmp_o_f32_e32 vcc, v13, v14
	v_mov_b32_e32 v16, 2
	s_mov_b64 s[0:1], -1
	s_and_saveexec_b64 s[36:37], vcc
	s_cbranch_execz .LBB47_6
; %bb.16:                               ;   in Loop: Header=BB47_10 Depth=1
	s_and_b64 vcc, exec, s[20:21]
	s_cbranch_vccz .LBB47_19
; %bb.17:                               ;   in Loop: Header=BB47_10 Depth=1
	s_and_b64 vcc, exec, s[22:23]
	s_cbranch_vccz .LBB47_20
; %bb.18:                               ;   in Loop: Header=BB47_10 Depth=1
	v_cmp_le_i32_e32 vcc, v15, v17
	s_mov_b32 s16, 7
	s_and_b64 s[2:3], vcc, exec
	s_cbranch_execz .LBB47_21
	s_branch .LBB47_22
.LBB47_19:                              ;   in Loop: Header=BB47_10 Depth=1
	s_mov_b32 s16, 2
	s_branch .LBB47_22
.LBB47_20:                              ;   in Loop: Header=BB47_10 Depth=1
	s_mov_b64 s[2:3], 0
	s_mov_b32 s16, 2
.LBB47_21:                              ;   in Loop: Header=BB47_10 Depth=1
	v_cmp_ge_i32_e32 vcc, v15, v17
	s_andn2_b64 s[2:3], s[2:3], exec
	s_and_b64 s[40:41], vcc, exec
	s_mov_b32 s16, 7
	s_or_b64 s[2:3], s[2:3], s[40:41]
.LBB47_22:                              ;   in Loop: Header=BB47_10 Depth=1
	v_mov_b32_e32 v16, s16
	s_mov_b64 s[42:43], -1
	s_and_saveexec_b64 s[40:41], s[2:3]
	s_cbranch_execz .LBB47_5
; %bb.23:                               ;   in Loop: Header=BB47_10 Depth=1
	s_nor_b64 s[0:1], s[14:15], s[38:39]
	s_mov_b64 s[38:39], -1
	v_mov_b32_e32 v16, s16
	s_and_saveexec_b64 s[44:45], s[0:1]
	s_cbranch_execz .LBB47_25
; %bb.24:                               ;   in Loop: Header=BB47_10 Depth=1
	global_load_dword v13, v[9:10], off
	v_mov_b32_e32 v16, 6
	s_waitcnt vmcnt(0)
	v_subrev_u32_e32 v14, s12, v13
	v_cmp_lt_i32_e64 s[0:1], -1, v14
	v_cmp_gt_i32_e64 s[2:3], s17, v14
	s_and_b64 s[0:1], s[0:1], s[2:3]
	v_cmp_gt_i32_e32 vcc, v0, v13
	s_xor_b64 s[0:1], s[0:1], -1
	s_or_b64 s[0:1], vcc, s[0:1]
	s_orn2_b64 s[42:43], s[0:1], exec
.LBB47_25:                              ;   in Loop: Header=BB47_10 Depth=1
	s_or_b64 exec, exec, s[44:45]
	s_mov_b64 s[2:3], -1
	s_and_saveexec_b64 s[0:1], s[42:43]
	s_cbranch_execz .LBB47_4
; %bb.26:                               ;   in Loop: Header=BB47_10 Depth=1
	v_add_co_u32_e32 v5, vcc, 8, v5
	v_addc_co_u32_e32 v6, vcc, 0, v6, vcc
	v_add_co_u32_e32 v7, vcc, 32, v7
	v_addc_co_u32_e32 v8, vcc, 0, v8, vcc
	;; [unrolled: 2-line block ×4, first 2 shown]
	v_cmp_ge_i64_e32 vcc, v[5:6], v[3:4]
	s_xor_b64 s[2:3], exec, -1
	s_orn2_b64 s[38:39], vcc, exec
	s_branch .LBB47_4
.LBB47_27:
	s_or_b64 exec, exec, s[8:9]
	s_and_b64 s[8:9], s[10:11], exec
.LBB47_28:
	s_or_b64 exec, exec, s[18:19]
	s_orn2_b64 s[10:11], s[8:9], exec
.LBB47_29:
	s_or_b64 exec, exec, s[6:7]
	s_and_b64 exec, exec, s[10:11]
	s_cbranch_execz .LBB47_31
; %bb.30:
	s_load_dwordx2 s[0:1], s[4:5], 0x40
	v_mov_b32_e32 v0, 0
	s_waitcnt lgkmcnt(0)
	global_store_dword v0, v16, s[0:1]
.LBB47_31:
	s_endpgm
	.section	.rodata,"a",@progbits
	.p2align	6, 0x0
	.amdhsa_kernel _ZN9rocsparseL23check_matrix_csr_deviceILj256ELj8E21rocsparse_complex_numIfEliEEvT3_S3_T2_PKT1_PKS4_PKS3_SB_21rocsparse_index_base_22rocsparse_matrix_type_20rocsparse_fill_mode_23rocsparse_storage_mode_P22rocsparse_data_status_
		.amdhsa_group_segment_fixed_size 0
		.amdhsa_private_segment_fixed_size 0
		.amdhsa_kernarg_size 72
		.amdhsa_user_sgpr_count 6
		.amdhsa_user_sgpr_private_segment_buffer 1
		.amdhsa_user_sgpr_dispatch_ptr 0
		.amdhsa_user_sgpr_queue_ptr 0
		.amdhsa_user_sgpr_kernarg_segment_ptr 1
		.amdhsa_user_sgpr_dispatch_id 0
		.amdhsa_user_sgpr_flat_scratch_init 0
		.amdhsa_user_sgpr_private_segment_size 0
		.amdhsa_uses_dynamic_stack 0
		.amdhsa_system_sgpr_private_segment_wavefront_offset 0
		.amdhsa_system_sgpr_workgroup_id_x 1
		.amdhsa_system_sgpr_workgroup_id_y 0
		.amdhsa_system_sgpr_workgroup_id_z 0
		.amdhsa_system_sgpr_workgroup_info 0
		.amdhsa_system_vgpr_workitem_id 0
		.amdhsa_next_free_vgpr 19
		.amdhsa_next_free_sgpr 46
		.amdhsa_reserve_vcc 1
		.amdhsa_reserve_flat_scratch 0
		.amdhsa_float_round_mode_32 0
		.amdhsa_float_round_mode_16_64 0
		.amdhsa_float_denorm_mode_32 3
		.amdhsa_float_denorm_mode_16_64 3
		.amdhsa_dx10_clamp 1
		.amdhsa_ieee_mode 1
		.amdhsa_fp16_overflow 0
		.amdhsa_exception_fp_ieee_invalid_op 0
		.amdhsa_exception_fp_denorm_src 0
		.amdhsa_exception_fp_ieee_div_zero 0
		.amdhsa_exception_fp_ieee_overflow 0
		.amdhsa_exception_fp_ieee_underflow 0
		.amdhsa_exception_fp_ieee_inexact 0
		.amdhsa_exception_int_div_zero 0
	.end_amdhsa_kernel
	.section	.text._ZN9rocsparseL23check_matrix_csr_deviceILj256ELj8E21rocsparse_complex_numIfEliEEvT3_S3_T2_PKT1_PKS4_PKS3_SB_21rocsparse_index_base_22rocsparse_matrix_type_20rocsparse_fill_mode_23rocsparse_storage_mode_P22rocsparse_data_status_,"axG",@progbits,_ZN9rocsparseL23check_matrix_csr_deviceILj256ELj8E21rocsparse_complex_numIfEliEEvT3_S3_T2_PKT1_PKS4_PKS3_SB_21rocsparse_index_base_22rocsparse_matrix_type_20rocsparse_fill_mode_23rocsparse_storage_mode_P22rocsparse_data_status_,comdat
.Lfunc_end47:
	.size	_ZN9rocsparseL23check_matrix_csr_deviceILj256ELj8E21rocsparse_complex_numIfEliEEvT3_S3_T2_PKT1_PKS4_PKS3_SB_21rocsparse_index_base_22rocsparse_matrix_type_20rocsparse_fill_mode_23rocsparse_storage_mode_P22rocsparse_data_status_, .Lfunc_end47-_ZN9rocsparseL23check_matrix_csr_deviceILj256ELj8E21rocsparse_complex_numIfEliEEvT3_S3_T2_PKT1_PKS4_PKS3_SB_21rocsparse_index_base_22rocsparse_matrix_type_20rocsparse_fill_mode_23rocsparse_storage_mode_P22rocsparse_data_status_
                                        ; -- End function
	.set _ZN9rocsparseL23check_matrix_csr_deviceILj256ELj8E21rocsparse_complex_numIfEliEEvT3_S3_T2_PKT1_PKS4_PKS3_SB_21rocsparse_index_base_22rocsparse_matrix_type_20rocsparse_fill_mode_23rocsparse_storage_mode_P22rocsparse_data_status_.num_vgpr, 19
	.set _ZN9rocsparseL23check_matrix_csr_deviceILj256ELj8E21rocsparse_complex_numIfEliEEvT3_S3_T2_PKT1_PKS4_PKS3_SB_21rocsparse_index_base_22rocsparse_matrix_type_20rocsparse_fill_mode_23rocsparse_storage_mode_P22rocsparse_data_status_.num_agpr, 0
	.set _ZN9rocsparseL23check_matrix_csr_deviceILj256ELj8E21rocsparse_complex_numIfEliEEvT3_S3_T2_PKT1_PKS4_PKS3_SB_21rocsparse_index_base_22rocsparse_matrix_type_20rocsparse_fill_mode_23rocsparse_storage_mode_P22rocsparse_data_status_.numbered_sgpr, 46
	.set _ZN9rocsparseL23check_matrix_csr_deviceILj256ELj8E21rocsparse_complex_numIfEliEEvT3_S3_T2_PKT1_PKS4_PKS3_SB_21rocsparse_index_base_22rocsparse_matrix_type_20rocsparse_fill_mode_23rocsparse_storage_mode_P22rocsparse_data_status_.num_named_barrier, 0
	.set _ZN9rocsparseL23check_matrix_csr_deviceILj256ELj8E21rocsparse_complex_numIfEliEEvT3_S3_T2_PKT1_PKS4_PKS3_SB_21rocsparse_index_base_22rocsparse_matrix_type_20rocsparse_fill_mode_23rocsparse_storage_mode_P22rocsparse_data_status_.private_seg_size, 0
	.set _ZN9rocsparseL23check_matrix_csr_deviceILj256ELj8E21rocsparse_complex_numIfEliEEvT3_S3_T2_PKT1_PKS4_PKS3_SB_21rocsparse_index_base_22rocsparse_matrix_type_20rocsparse_fill_mode_23rocsparse_storage_mode_P22rocsparse_data_status_.uses_vcc, 1
	.set _ZN9rocsparseL23check_matrix_csr_deviceILj256ELj8E21rocsparse_complex_numIfEliEEvT3_S3_T2_PKT1_PKS4_PKS3_SB_21rocsparse_index_base_22rocsparse_matrix_type_20rocsparse_fill_mode_23rocsparse_storage_mode_P22rocsparse_data_status_.uses_flat_scratch, 0
	.set _ZN9rocsparseL23check_matrix_csr_deviceILj256ELj8E21rocsparse_complex_numIfEliEEvT3_S3_T2_PKT1_PKS4_PKS3_SB_21rocsparse_index_base_22rocsparse_matrix_type_20rocsparse_fill_mode_23rocsparse_storage_mode_P22rocsparse_data_status_.has_dyn_sized_stack, 0
	.set _ZN9rocsparseL23check_matrix_csr_deviceILj256ELj8E21rocsparse_complex_numIfEliEEvT3_S3_T2_PKT1_PKS4_PKS3_SB_21rocsparse_index_base_22rocsparse_matrix_type_20rocsparse_fill_mode_23rocsparse_storage_mode_P22rocsparse_data_status_.has_recursion, 0
	.set _ZN9rocsparseL23check_matrix_csr_deviceILj256ELj8E21rocsparse_complex_numIfEliEEvT3_S3_T2_PKT1_PKS4_PKS3_SB_21rocsparse_index_base_22rocsparse_matrix_type_20rocsparse_fill_mode_23rocsparse_storage_mode_P22rocsparse_data_status_.has_indirect_call, 0
	.section	.AMDGPU.csdata,"",@progbits
; Kernel info:
; codeLenInByte = 928
; TotalNumSgprs: 50
; NumVgprs: 19
; ScratchSize: 0
; MemoryBound: 0
; FloatMode: 240
; IeeeMode: 1
; LDSByteSize: 0 bytes/workgroup (compile time only)
; SGPRBlocks: 6
; VGPRBlocks: 4
; NumSGPRsForWavesPerEU: 50
; NumVGPRsForWavesPerEU: 19
; Occupancy: 10
; WaveLimiterHint : 0
; COMPUTE_PGM_RSRC2:SCRATCH_EN: 0
; COMPUTE_PGM_RSRC2:USER_SGPR: 6
; COMPUTE_PGM_RSRC2:TRAP_HANDLER: 0
; COMPUTE_PGM_RSRC2:TGID_X_EN: 1
; COMPUTE_PGM_RSRC2:TGID_Y_EN: 0
; COMPUTE_PGM_RSRC2:TGID_Z_EN: 0
; COMPUTE_PGM_RSRC2:TIDIG_COMP_CNT: 0
	.section	.text._ZN9rocsparseL23check_matrix_csr_deviceILj256ELj16E21rocsparse_complex_numIfEliEEvT3_S3_T2_PKT1_PKS4_PKS3_SB_21rocsparse_index_base_22rocsparse_matrix_type_20rocsparse_fill_mode_23rocsparse_storage_mode_P22rocsparse_data_status_,"axG",@progbits,_ZN9rocsparseL23check_matrix_csr_deviceILj256ELj16E21rocsparse_complex_numIfEliEEvT3_S3_T2_PKT1_PKS4_PKS3_SB_21rocsparse_index_base_22rocsparse_matrix_type_20rocsparse_fill_mode_23rocsparse_storage_mode_P22rocsparse_data_status_,comdat
	.globl	_ZN9rocsparseL23check_matrix_csr_deviceILj256ELj16E21rocsparse_complex_numIfEliEEvT3_S3_T2_PKT1_PKS4_PKS3_SB_21rocsparse_index_base_22rocsparse_matrix_type_20rocsparse_fill_mode_23rocsparse_storage_mode_P22rocsparse_data_status_ ; -- Begin function _ZN9rocsparseL23check_matrix_csr_deviceILj256ELj16E21rocsparse_complex_numIfEliEEvT3_S3_T2_PKT1_PKS4_PKS3_SB_21rocsparse_index_base_22rocsparse_matrix_type_20rocsparse_fill_mode_23rocsparse_storage_mode_P22rocsparse_data_status_
	.p2align	8
	.type	_ZN9rocsparseL23check_matrix_csr_deviceILj256ELj16E21rocsparse_complex_numIfEliEEvT3_S3_T2_PKT1_PKS4_PKS3_SB_21rocsparse_index_base_22rocsparse_matrix_type_20rocsparse_fill_mode_23rocsparse_storage_mode_P22rocsparse_data_status_,@function
_ZN9rocsparseL23check_matrix_csr_deviceILj256ELj16E21rocsparse_complex_numIfEliEEvT3_S3_T2_PKT1_PKS4_PKS3_SB_21rocsparse_index_base_22rocsparse_matrix_type_20rocsparse_fill_mode_23rocsparse_storage_mode_P22rocsparse_data_status_: ; @_ZN9rocsparseL23check_matrix_csr_deviceILj256ELj16E21rocsparse_complex_numIfEliEEvT3_S3_T2_PKT1_PKS4_PKS3_SB_21rocsparse_index_base_22rocsparse_matrix_type_20rocsparse_fill_mode_23rocsparse_storage_mode_P22rocsparse_data_status_
; %bb.0:
	s_load_dwordx2 s[16:17], s[4:5], 0x0
	v_lshl_or_b32 v1, s6, 8, v0
	v_lshrrev_b32_e32 v15, 4, v1
	s_waitcnt lgkmcnt(0)
	v_cmp_gt_i32_e32 vcc, s16, v15
	s_and_saveexec_b64 s[0:1], vcc
	s_cbranch_execz .LBB48_31
; %bb.1:
	s_load_dwordx2 s[0:1], s[4:5], 0x18
	v_lshlrev_b32_e32 v1, 3, v15
	v_mov_b32_e32 v16, 3
	s_mov_b64 s[10:11], -1
	s_mov_b64 s[8:9], 0
	s_waitcnt lgkmcnt(0)
	global_load_dwordx4 v[5:8], v1, s[0:1]
	s_load_dwordx2 s[0:1], s[0:1], 0x0
	s_waitcnt lgkmcnt(0)
	v_mov_b32_e32 v4, s1
	s_waitcnt vmcnt(0)
	v_subrev_co_u32_e32 v1, vcc, s0, v5
	v_subb_co_u32_e32 v2, vcc, v6, v4, vcc
	v_subrev_co_u32_e32 v3, vcc, s0, v7
	v_subb_co_u32_e32 v4, vcc, v8, v4, vcc
	v_cmp_gt_i64_e64 s[0:1], 0, v[3:4]
	v_cmp_lt_i64_e64 s[2:3], v[7:8], v[5:6]
	v_cmp_lt_i64_e32 vcc, -1, v[1:2]
	s_or_b64 s[0:1], s[0:1], s[2:3]
	s_xor_b64 s[0:1], s[0:1], -1
	s_and_b64 s[0:1], vcc, s[0:1]
	s_and_saveexec_b64 s[6:7], s[0:1]
	s_cbranch_execz .LBB48_29
; %bb.2:
	v_and_b32_e32 v0, 15, v0
	v_add_co_u32_e32 v5, vcc, v1, v0
	v_addc_co_u32_e32 v6, vcc, 0, v2, vcc
	v_cmp_lt_u64_e32 vcc, v[5:6], v[3:4]
	v_mov_b32_e32 v16, 3
	s_and_saveexec_b64 s[18:19], vcc
	s_cbranch_execz .LBB48_28
; %bb.3:
	s_load_dwordx8 s[8:15], s[4:5], 0x20
	s_load_dwordx2 s[0:1], s[4:5], 0x10
	v_lshlrev_b64 v[7:8], 2, v[5:6]
                                        ; implicit-def: $sgpr24_sgpr25
                                        ; implicit-def: $sgpr26_sgpr27
	v_add_co_u32_e32 v0, vcc, -4, v7
	v_addc_co_u32_e32 v10, vcc, -1, v8, vcc
	s_waitcnt lgkmcnt(0)
	v_mov_b32_e32 v8, s11
	v_add_co_u32_e32 v7, vcc, s10, v0
	v_addc_co_u32_e32 v8, vcc, v8, v10, vcc
	v_mov_b32_e32 v11, s9
	v_add_co_u32_e32 v9, vcc, s8, v0
	v_addc_co_u32_e32 v10, vcc, v11, v10, vcc
	v_lshlrev_b64 v[11:12], 3, v[5:6]
	s_cmp_lg_u32 s13, 0
	v_mov_b32_e32 v0, s1
	v_add_co_u32_e32 v11, vcc, s0, v11
	s_cselect_b64 s[20:21], -1, 0
	s_cmp_lg_u32 s14, 0
	v_addc_co_u32_e32 v0, vcc, v0, v12, vcc
	s_cselect_b64 s[22:23], -1, 0
	s_cmp_lg_u32 s15, 0
	v_add_co_u32_e32 v11, vcc, 4, v11
	s_cselect_b64 s[14:15], -1, 0
	v_addc_co_u32_e32 v12, vcc, 0, v0, vcc
	s_mov_b64 s[8:9], 0
	s_mov_b32 s13, 0x7f800000
                                        ; implicit-def: $sgpr10_sgpr11
	s_branch .LBB48_10
.LBB48_4:                               ;   in Loop: Header=BB48_10 Depth=1
	s_or_b64 exec, exec, s[0:1]
	s_orn2_b64 s[42:43], s[2:3], exec
	s_orn2_b64 s[0:1], s[38:39], exec
.LBB48_5:                               ;   in Loop: Header=BB48_10 Depth=1
	s_or_b64 exec, exec, s[40:41]
	s_orn2_b64 s[2:3], s[42:43], exec
	s_orn2_b64 s[0:1], s[0:1], exec
.LBB48_6:                               ;   in Loop: Header=BB48_10 Depth=1
	s_or_b64 exec, exec, s[36:37]
	s_orn2_b64 s[36:37], s[2:3], exec
	s_orn2_b64 s[2:3], s[0:1], exec
.LBB48_7:                               ;   in Loop: Header=BB48_10 Depth=1
	s_or_b64 exec, exec, s[34:35]
	s_orn2_b64 s[34:35], s[36:37], exec
	s_orn2_b64 s[0:1], s[2:3], exec
.LBB48_8:                               ;   in Loop: Header=BB48_10 Depth=1
	s_or_b64 exec, exec, s[30:31]
	s_andn2_b64 s[2:3], s[26:27], exec
	s_and_b64 s[26:27], s[34:35], exec
	s_or_b64 s[26:27], s[2:3], s[26:27]
	s_andn2_b64 s[2:3], s[24:25], exec
	s_and_b64 s[0:1], s[0:1], exec
	s_or_b64 s[24:25], s[2:3], s[0:1]
.LBB48_9:                               ;   in Loop: Header=BB48_10 Depth=1
	s_or_b64 exec, exec, s[28:29]
	s_and_b64 s[0:1], exec, s[24:25]
	s_or_b64 s[8:9], s[0:1], s[8:9]
	s_andn2_b64 s[0:1], s[10:11], exec
	s_and_b64 s[2:3], s[26:27], exec
	s_or_b64 s[10:11], s[0:1], s[2:3]
	s_andn2_b64 exec, exec, s[8:9]
	s_cbranch_execz .LBB48_27
.LBB48_10:                              ; =>This Inner Loop Header: Depth=1
	global_load_dword v0, v[9:10], off offset:4
	v_mov_b32_e32 v16, 4
	s_or_b64 s[26:27], s[26:27], exec
	s_or_b64 s[24:25], s[24:25], exec
	s_waitcnt vmcnt(0)
	v_subrev_u32_e32 v17, s12, v0
	v_cmp_lt_i32_e32 vcc, -1, v17
	v_cmp_gt_i32_e64 s[0:1], s17, v17
	s_and_b64 s[0:1], vcc, s[0:1]
	s_and_saveexec_b64 s[28:29], s[0:1]
	s_cbranch_execz .LBB48_9
; %bb.11:                               ;   in Loop: Header=BB48_10 Depth=1
	v_cmp_le_i64_e64 s[38:39], v[5:6], v[1:2]
	v_cmp_gt_i64_e32 vcc, v[5:6], v[1:2]
	v_mov_b32_e32 v16, 4
	s_mov_b64 s[2:3], s[38:39]
	s_and_saveexec_b64 s[30:31], vcc
	s_cbranch_execz .LBB48_13
; %bb.12:                               ;   in Loop: Header=BB48_10 Depth=1
	global_load_dwordx2 v[13:14], v[7:8], off
	v_mov_b32_e32 v16, 5
	s_waitcnt vmcnt(0)
	v_subrev_u32_e32 v18, s12, v13
	v_cmp_lt_i32_e64 s[0:1], -1, v18
	v_cmp_gt_i32_e64 s[2:3], s17, v18
	s_and_b64 s[0:1], s[0:1], s[2:3]
	v_cmp_ne_u32_e32 vcc, v14, v13
	s_xor_b64 s[0:1], s[0:1], -1
	s_or_b64 s[0:1], vcc, s[0:1]
	s_andn2_b64 s[2:3], s[38:39], exec
	s_and_b64 s[0:1], s[0:1], exec
	s_or_b64 s[2:3], s[2:3], s[0:1]
.LBB48_13:                              ;   in Loop: Header=BB48_10 Depth=1
	s_or_b64 exec, exec, s[30:31]
	s_mov_b64 s[0:1], -1
	s_mov_b64 s[34:35], -1
	s_and_saveexec_b64 s[30:31], s[2:3]
	s_cbranch_execz .LBB48_8
; %bb.14:                               ;   in Loop: Header=BB48_10 Depth=1
	global_load_dwordx2 v[13:14], v[11:12], off offset:-4
	v_mov_b32_e32 v16, 1
	s_mov_b64 s[2:3], -1
	s_mov_b64 s[36:37], -1
	s_waitcnt vmcnt(0)
	v_cmp_neq_f32_e32 vcc, s13, v13
	v_cmp_neq_f32_e64 s[0:1], s13, v14
	s_and_b64 s[0:1], vcc, s[0:1]
	s_and_saveexec_b64 s[34:35], s[0:1]
	s_cbranch_execz .LBB48_7
; %bb.15:                               ;   in Loop: Header=BB48_10 Depth=1
	v_cmp_o_f32_e32 vcc, v13, v14
	v_mov_b32_e32 v16, 2
	s_mov_b64 s[0:1], -1
	s_and_saveexec_b64 s[36:37], vcc
	s_cbranch_execz .LBB48_6
; %bb.16:                               ;   in Loop: Header=BB48_10 Depth=1
	s_and_b64 vcc, exec, s[20:21]
	s_cbranch_vccz .LBB48_19
; %bb.17:                               ;   in Loop: Header=BB48_10 Depth=1
	s_and_b64 vcc, exec, s[22:23]
	s_cbranch_vccz .LBB48_20
; %bb.18:                               ;   in Loop: Header=BB48_10 Depth=1
	v_cmp_le_i32_e32 vcc, v15, v17
	s_mov_b32 s16, 7
	s_and_b64 s[2:3], vcc, exec
	s_cbranch_execz .LBB48_21
	s_branch .LBB48_22
.LBB48_19:                              ;   in Loop: Header=BB48_10 Depth=1
	s_mov_b32 s16, 2
	s_branch .LBB48_22
.LBB48_20:                              ;   in Loop: Header=BB48_10 Depth=1
	s_mov_b64 s[2:3], 0
	s_mov_b32 s16, 2
.LBB48_21:                              ;   in Loop: Header=BB48_10 Depth=1
	v_cmp_ge_i32_e32 vcc, v15, v17
	s_andn2_b64 s[2:3], s[2:3], exec
	s_and_b64 s[40:41], vcc, exec
	s_mov_b32 s16, 7
	s_or_b64 s[2:3], s[2:3], s[40:41]
.LBB48_22:                              ;   in Loop: Header=BB48_10 Depth=1
	v_mov_b32_e32 v16, s16
	s_mov_b64 s[42:43], -1
	s_and_saveexec_b64 s[40:41], s[2:3]
	s_cbranch_execz .LBB48_5
; %bb.23:                               ;   in Loop: Header=BB48_10 Depth=1
	s_nor_b64 s[0:1], s[14:15], s[38:39]
	s_mov_b64 s[38:39], -1
	v_mov_b32_e32 v16, s16
	s_and_saveexec_b64 s[44:45], s[0:1]
	s_cbranch_execz .LBB48_25
; %bb.24:                               ;   in Loop: Header=BB48_10 Depth=1
	global_load_dword v13, v[9:10], off
	v_mov_b32_e32 v16, 6
	s_waitcnt vmcnt(0)
	v_subrev_u32_e32 v14, s12, v13
	v_cmp_lt_i32_e64 s[0:1], -1, v14
	v_cmp_gt_i32_e64 s[2:3], s17, v14
	s_and_b64 s[0:1], s[0:1], s[2:3]
	v_cmp_gt_i32_e32 vcc, v0, v13
	s_xor_b64 s[0:1], s[0:1], -1
	s_or_b64 s[0:1], vcc, s[0:1]
	s_orn2_b64 s[42:43], s[0:1], exec
.LBB48_25:                              ;   in Loop: Header=BB48_10 Depth=1
	s_or_b64 exec, exec, s[44:45]
	s_mov_b64 s[2:3], -1
	s_and_saveexec_b64 s[0:1], s[42:43]
	s_cbranch_execz .LBB48_4
; %bb.26:                               ;   in Loop: Header=BB48_10 Depth=1
	v_add_co_u32_e32 v5, vcc, 16, v5
	v_addc_co_u32_e32 v6, vcc, 0, v6, vcc
	v_add_co_u32_e32 v7, vcc, 64, v7
	v_addc_co_u32_e32 v8, vcc, 0, v8, vcc
	;; [unrolled: 2-line block ×4, first 2 shown]
	v_cmp_ge_i64_e32 vcc, v[5:6], v[3:4]
	s_xor_b64 s[2:3], exec, -1
	s_orn2_b64 s[38:39], vcc, exec
	s_branch .LBB48_4
.LBB48_27:
	s_or_b64 exec, exec, s[8:9]
	s_and_b64 s[8:9], s[10:11], exec
.LBB48_28:
	s_or_b64 exec, exec, s[18:19]
	s_orn2_b64 s[10:11], s[8:9], exec
.LBB48_29:
	s_or_b64 exec, exec, s[6:7]
	s_and_b64 exec, exec, s[10:11]
	s_cbranch_execz .LBB48_31
; %bb.30:
	s_load_dwordx2 s[0:1], s[4:5], 0x40
	v_mov_b32_e32 v0, 0
	s_waitcnt lgkmcnt(0)
	global_store_dword v0, v16, s[0:1]
.LBB48_31:
	s_endpgm
	.section	.rodata,"a",@progbits
	.p2align	6, 0x0
	.amdhsa_kernel _ZN9rocsparseL23check_matrix_csr_deviceILj256ELj16E21rocsparse_complex_numIfEliEEvT3_S3_T2_PKT1_PKS4_PKS3_SB_21rocsparse_index_base_22rocsparse_matrix_type_20rocsparse_fill_mode_23rocsparse_storage_mode_P22rocsparse_data_status_
		.amdhsa_group_segment_fixed_size 0
		.amdhsa_private_segment_fixed_size 0
		.amdhsa_kernarg_size 72
		.amdhsa_user_sgpr_count 6
		.amdhsa_user_sgpr_private_segment_buffer 1
		.amdhsa_user_sgpr_dispatch_ptr 0
		.amdhsa_user_sgpr_queue_ptr 0
		.amdhsa_user_sgpr_kernarg_segment_ptr 1
		.amdhsa_user_sgpr_dispatch_id 0
		.amdhsa_user_sgpr_flat_scratch_init 0
		.amdhsa_user_sgpr_private_segment_size 0
		.amdhsa_uses_dynamic_stack 0
		.amdhsa_system_sgpr_private_segment_wavefront_offset 0
		.amdhsa_system_sgpr_workgroup_id_x 1
		.amdhsa_system_sgpr_workgroup_id_y 0
		.amdhsa_system_sgpr_workgroup_id_z 0
		.amdhsa_system_sgpr_workgroup_info 0
		.amdhsa_system_vgpr_workitem_id 0
		.amdhsa_next_free_vgpr 19
		.amdhsa_next_free_sgpr 46
		.amdhsa_reserve_vcc 1
		.amdhsa_reserve_flat_scratch 0
		.amdhsa_float_round_mode_32 0
		.amdhsa_float_round_mode_16_64 0
		.amdhsa_float_denorm_mode_32 3
		.amdhsa_float_denorm_mode_16_64 3
		.amdhsa_dx10_clamp 1
		.amdhsa_ieee_mode 1
		.amdhsa_fp16_overflow 0
		.amdhsa_exception_fp_ieee_invalid_op 0
		.amdhsa_exception_fp_denorm_src 0
		.amdhsa_exception_fp_ieee_div_zero 0
		.amdhsa_exception_fp_ieee_overflow 0
		.amdhsa_exception_fp_ieee_underflow 0
		.amdhsa_exception_fp_ieee_inexact 0
		.amdhsa_exception_int_div_zero 0
	.end_amdhsa_kernel
	.section	.text._ZN9rocsparseL23check_matrix_csr_deviceILj256ELj16E21rocsparse_complex_numIfEliEEvT3_S3_T2_PKT1_PKS4_PKS3_SB_21rocsparse_index_base_22rocsparse_matrix_type_20rocsparse_fill_mode_23rocsparse_storage_mode_P22rocsparse_data_status_,"axG",@progbits,_ZN9rocsparseL23check_matrix_csr_deviceILj256ELj16E21rocsparse_complex_numIfEliEEvT3_S3_T2_PKT1_PKS4_PKS3_SB_21rocsparse_index_base_22rocsparse_matrix_type_20rocsparse_fill_mode_23rocsparse_storage_mode_P22rocsparse_data_status_,comdat
.Lfunc_end48:
	.size	_ZN9rocsparseL23check_matrix_csr_deviceILj256ELj16E21rocsparse_complex_numIfEliEEvT3_S3_T2_PKT1_PKS4_PKS3_SB_21rocsparse_index_base_22rocsparse_matrix_type_20rocsparse_fill_mode_23rocsparse_storage_mode_P22rocsparse_data_status_, .Lfunc_end48-_ZN9rocsparseL23check_matrix_csr_deviceILj256ELj16E21rocsparse_complex_numIfEliEEvT3_S3_T2_PKT1_PKS4_PKS3_SB_21rocsparse_index_base_22rocsparse_matrix_type_20rocsparse_fill_mode_23rocsparse_storage_mode_P22rocsparse_data_status_
                                        ; -- End function
	.set _ZN9rocsparseL23check_matrix_csr_deviceILj256ELj16E21rocsparse_complex_numIfEliEEvT3_S3_T2_PKT1_PKS4_PKS3_SB_21rocsparse_index_base_22rocsparse_matrix_type_20rocsparse_fill_mode_23rocsparse_storage_mode_P22rocsparse_data_status_.num_vgpr, 19
	.set _ZN9rocsparseL23check_matrix_csr_deviceILj256ELj16E21rocsparse_complex_numIfEliEEvT3_S3_T2_PKT1_PKS4_PKS3_SB_21rocsparse_index_base_22rocsparse_matrix_type_20rocsparse_fill_mode_23rocsparse_storage_mode_P22rocsparse_data_status_.num_agpr, 0
	.set _ZN9rocsparseL23check_matrix_csr_deviceILj256ELj16E21rocsparse_complex_numIfEliEEvT3_S3_T2_PKT1_PKS4_PKS3_SB_21rocsparse_index_base_22rocsparse_matrix_type_20rocsparse_fill_mode_23rocsparse_storage_mode_P22rocsparse_data_status_.numbered_sgpr, 46
	.set _ZN9rocsparseL23check_matrix_csr_deviceILj256ELj16E21rocsparse_complex_numIfEliEEvT3_S3_T2_PKT1_PKS4_PKS3_SB_21rocsparse_index_base_22rocsparse_matrix_type_20rocsparse_fill_mode_23rocsparse_storage_mode_P22rocsparse_data_status_.num_named_barrier, 0
	.set _ZN9rocsparseL23check_matrix_csr_deviceILj256ELj16E21rocsparse_complex_numIfEliEEvT3_S3_T2_PKT1_PKS4_PKS3_SB_21rocsparse_index_base_22rocsparse_matrix_type_20rocsparse_fill_mode_23rocsparse_storage_mode_P22rocsparse_data_status_.private_seg_size, 0
	.set _ZN9rocsparseL23check_matrix_csr_deviceILj256ELj16E21rocsparse_complex_numIfEliEEvT3_S3_T2_PKT1_PKS4_PKS3_SB_21rocsparse_index_base_22rocsparse_matrix_type_20rocsparse_fill_mode_23rocsparse_storage_mode_P22rocsparse_data_status_.uses_vcc, 1
	.set _ZN9rocsparseL23check_matrix_csr_deviceILj256ELj16E21rocsparse_complex_numIfEliEEvT3_S3_T2_PKT1_PKS4_PKS3_SB_21rocsparse_index_base_22rocsparse_matrix_type_20rocsparse_fill_mode_23rocsparse_storage_mode_P22rocsparse_data_status_.uses_flat_scratch, 0
	.set _ZN9rocsparseL23check_matrix_csr_deviceILj256ELj16E21rocsparse_complex_numIfEliEEvT3_S3_T2_PKT1_PKS4_PKS3_SB_21rocsparse_index_base_22rocsparse_matrix_type_20rocsparse_fill_mode_23rocsparse_storage_mode_P22rocsparse_data_status_.has_dyn_sized_stack, 0
	.set _ZN9rocsparseL23check_matrix_csr_deviceILj256ELj16E21rocsparse_complex_numIfEliEEvT3_S3_T2_PKT1_PKS4_PKS3_SB_21rocsparse_index_base_22rocsparse_matrix_type_20rocsparse_fill_mode_23rocsparse_storage_mode_P22rocsparse_data_status_.has_recursion, 0
	.set _ZN9rocsparseL23check_matrix_csr_deviceILj256ELj16E21rocsparse_complex_numIfEliEEvT3_S3_T2_PKT1_PKS4_PKS3_SB_21rocsparse_index_base_22rocsparse_matrix_type_20rocsparse_fill_mode_23rocsparse_storage_mode_P22rocsparse_data_status_.has_indirect_call, 0
	.section	.AMDGPU.csdata,"",@progbits
; Kernel info:
; codeLenInByte = 932
; TotalNumSgprs: 50
; NumVgprs: 19
; ScratchSize: 0
; MemoryBound: 0
; FloatMode: 240
; IeeeMode: 1
; LDSByteSize: 0 bytes/workgroup (compile time only)
; SGPRBlocks: 6
; VGPRBlocks: 4
; NumSGPRsForWavesPerEU: 50
; NumVGPRsForWavesPerEU: 19
; Occupancy: 10
; WaveLimiterHint : 0
; COMPUTE_PGM_RSRC2:SCRATCH_EN: 0
; COMPUTE_PGM_RSRC2:USER_SGPR: 6
; COMPUTE_PGM_RSRC2:TRAP_HANDLER: 0
; COMPUTE_PGM_RSRC2:TGID_X_EN: 1
; COMPUTE_PGM_RSRC2:TGID_Y_EN: 0
; COMPUTE_PGM_RSRC2:TGID_Z_EN: 0
; COMPUTE_PGM_RSRC2:TIDIG_COMP_CNT: 0
	.section	.text._ZN9rocsparseL23check_matrix_csr_deviceILj256ELj32E21rocsparse_complex_numIfEliEEvT3_S3_T2_PKT1_PKS4_PKS3_SB_21rocsparse_index_base_22rocsparse_matrix_type_20rocsparse_fill_mode_23rocsparse_storage_mode_P22rocsparse_data_status_,"axG",@progbits,_ZN9rocsparseL23check_matrix_csr_deviceILj256ELj32E21rocsparse_complex_numIfEliEEvT3_S3_T2_PKT1_PKS4_PKS3_SB_21rocsparse_index_base_22rocsparse_matrix_type_20rocsparse_fill_mode_23rocsparse_storage_mode_P22rocsparse_data_status_,comdat
	.globl	_ZN9rocsparseL23check_matrix_csr_deviceILj256ELj32E21rocsparse_complex_numIfEliEEvT3_S3_T2_PKT1_PKS4_PKS3_SB_21rocsparse_index_base_22rocsparse_matrix_type_20rocsparse_fill_mode_23rocsparse_storage_mode_P22rocsparse_data_status_ ; -- Begin function _ZN9rocsparseL23check_matrix_csr_deviceILj256ELj32E21rocsparse_complex_numIfEliEEvT3_S3_T2_PKT1_PKS4_PKS3_SB_21rocsparse_index_base_22rocsparse_matrix_type_20rocsparse_fill_mode_23rocsparse_storage_mode_P22rocsparse_data_status_
	.p2align	8
	.type	_ZN9rocsparseL23check_matrix_csr_deviceILj256ELj32E21rocsparse_complex_numIfEliEEvT3_S3_T2_PKT1_PKS4_PKS3_SB_21rocsparse_index_base_22rocsparse_matrix_type_20rocsparse_fill_mode_23rocsparse_storage_mode_P22rocsparse_data_status_,@function
_ZN9rocsparseL23check_matrix_csr_deviceILj256ELj32E21rocsparse_complex_numIfEliEEvT3_S3_T2_PKT1_PKS4_PKS3_SB_21rocsparse_index_base_22rocsparse_matrix_type_20rocsparse_fill_mode_23rocsparse_storage_mode_P22rocsparse_data_status_: ; @_ZN9rocsparseL23check_matrix_csr_deviceILj256ELj32E21rocsparse_complex_numIfEliEEvT3_S3_T2_PKT1_PKS4_PKS3_SB_21rocsparse_index_base_22rocsparse_matrix_type_20rocsparse_fill_mode_23rocsparse_storage_mode_P22rocsparse_data_status_
; %bb.0:
	s_load_dwordx2 s[16:17], s[4:5], 0x0
	v_lshl_or_b32 v1, s6, 8, v0
	v_lshrrev_b32_e32 v15, 5, v1
	s_waitcnt lgkmcnt(0)
	v_cmp_gt_i32_e32 vcc, s16, v15
	s_and_saveexec_b64 s[0:1], vcc
	s_cbranch_execz .LBB49_31
; %bb.1:
	s_load_dwordx2 s[0:1], s[4:5], 0x18
	v_lshlrev_b32_e32 v1, 3, v15
	v_mov_b32_e32 v16, 3
	s_mov_b64 s[10:11], -1
	s_mov_b64 s[8:9], 0
	s_waitcnt lgkmcnt(0)
	global_load_dwordx4 v[5:8], v1, s[0:1]
	s_load_dwordx2 s[0:1], s[0:1], 0x0
	s_waitcnt lgkmcnt(0)
	v_mov_b32_e32 v4, s1
	s_waitcnt vmcnt(0)
	v_subrev_co_u32_e32 v1, vcc, s0, v5
	v_subb_co_u32_e32 v2, vcc, v6, v4, vcc
	v_subrev_co_u32_e32 v3, vcc, s0, v7
	v_subb_co_u32_e32 v4, vcc, v8, v4, vcc
	v_cmp_gt_i64_e64 s[0:1], 0, v[3:4]
	v_cmp_lt_i64_e64 s[2:3], v[7:8], v[5:6]
	v_cmp_lt_i64_e32 vcc, -1, v[1:2]
	s_or_b64 s[0:1], s[0:1], s[2:3]
	s_xor_b64 s[0:1], s[0:1], -1
	s_and_b64 s[0:1], vcc, s[0:1]
	s_and_saveexec_b64 s[6:7], s[0:1]
	s_cbranch_execz .LBB49_29
; %bb.2:
	v_and_b32_e32 v0, 31, v0
	v_add_co_u32_e32 v5, vcc, v1, v0
	v_addc_co_u32_e32 v6, vcc, 0, v2, vcc
	v_cmp_lt_u64_e32 vcc, v[5:6], v[3:4]
	v_mov_b32_e32 v16, 3
	s_and_saveexec_b64 s[18:19], vcc
	s_cbranch_execz .LBB49_28
; %bb.3:
	s_load_dwordx8 s[8:15], s[4:5], 0x20
	s_load_dwordx2 s[0:1], s[4:5], 0x10
	v_lshlrev_b64 v[7:8], 2, v[5:6]
                                        ; implicit-def: $sgpr24_sgpr25
                                        ; implicit-def: $sgpr26_sgpr27
	v_add_co_u32_e32 v0, vcc, -4, v7
	v_addc_co_u32_e32 v10, vcc, -1, v8, vcc
	s_waitcnt lgkmcnt(0)
	v_mov_b32_e32 v8, s11
	v_add_co_u32_e32 v7, vcc, s10, v0
	v_addc_co_u32_e32 v8, vcc, v8, v10, vcc
	v_mov_b32_e32 v11, s9
	v_add_co_u32_e32 v9, vcc, s8, v0
	v_addc_co_u32_e32 v10, vcc, v11, v10, vcc
	v_lshlrev_b64 v[11:12], 3, v[5:6]
	s_cmp_lg_u32 s13, 0
	v_mov_b32_e32 v0, s1
	v_add_co_u32_e32 v11, vcc, s0, v11
	s_cselect_b64 s[20:21], -1, 0
	s_cmp_lg_u32 s14, 0
	v_addc_co_u32_e32 v0, vcc, v0, v12, vcc
	s_cselect_b64 s[22:23], -1, 0
	s_cmp_lg_u32 s15, 0
	v_add_co_u32_e32 v11, vcc, 4, v11
	s_cselect_b64 s[14:15], -1, 0
	v_addc_co_u32_e32 v12, vcc, 0, v0, vcc
	s_mov_b64 s[8:9], 0
	s_mov_b32 s13, 0x7f800000
                                        ; implicit-def: $sgpr10_sgpr11
	s_branch .LBB49_10
.LBB49_4:                               ;   in Loop: Header=BB49_10 Depth=1
	s_or_b64 exec, exec, s[0:1]
	s_orn2_b64 s[42:43], s[2:3], exec
	s_orn2_b64 s[0:1], s[38:39], exec
.LBB49_5:                               ;   in Loop: Header=BB49_10 Depth=1
	s_or_b64 exec, exec, s[40:41]
	s_orn2_b64 s[2:3], s[42:43], exec
	s_orn2_b64 s[0:1], s[0:1], exec
.LBB49_6:                               ;   in Loop: Header=BB49_10 Depth=1
	s_or_b64 exec, exec, s[36:37]
	s_orn2_b64 s[36:37], s[2:3], exec
	s_orn2_b64 s[2:3], s[0:1], exec
.LBB49_7:                               ;   in Loop: Header=BB49_10 Depth=1
	s_or_b64 exec, exec, s[34:35]
	s_orn2_b64 s[34:35], s[36:37], exec
	s_orn2_b64 s[0:1], s[2:3], exec
.LBB49_8:                               ;   in Loop: Header=BB49_10 Depth=1
	s_or_b64 exec, exec, s[30:31]
	s_andn2_b64 s[2:3], s[26:27], exec
	s_and_b64 s[26:27], s[34:35], exec
	s_or_b64 s[26:27], s[2:3], s[26:27]
	s_andn2_b64 s[2:3], s[24:25], exec
	s_and_b64 s[0:1], s[0:1], exec
	s_or_b64 s[24:25], s[2:3], s[0:1]
.LBB49_9:                               ;   in Loop: Header=BB49_10 Depth=1
	s_or_b64 exec, exec, s[28:29]
	s_and_b64 s[0:1], exec, s[24:25]
	s_or_b64 s[8:9], s[0:1], s[8:9]
	s_andn2_b64 s[0:1], s[10:11], exec
	s_and_b64 s[2:3], s[26:27], exec
	s_or_b64 s[10:11], s[0:1], s[2:3]
	s_andn2_b64 exec, exec, s[8:9]
	s_cbranch_execz .LBB49_27
.LBB49_10:                              ; =>This Inner Loop Header: Depth=1
	global_load_dword v0, v[9:10], off offset:4
	v_mov_b32_e32 v16, 4
	s_or_b64 s[26:27], s[26:27], exec
	s_or_b64 s[24:25], s[24:25], exec
	s_waitcnt vmcnt(0)
	v_subrev_u32_e32 v17, s12, v0
	v_cmp_lt_i32_e32 vcc, -1, v17
	v_cmp_gt_i32_e64 s[0:1], s17, v17
	s_and_b64 s[0:1], vcc, s[0:1]
	s_and_saveexec_b64 s[28:29], s[0:1]
	s_cbranch_execz .LBB49_9
; %bb.11:                               ;   in Loop: Header=BB49_10 Depth=1
	v_cmp_le_i64_e64 s[38:39], v[5:6], v[1:2]
	v_cmp_gt_i64_e32 vcc, v[5:6], v[1:2]
	v_mov_b32_e32 v16, 4
	s_mov_b64 s[2:3], s[38:39]
	s_and_saveexec_b64 s[30:31], vcc
	s_cbranch_execz .LBB49_13
; %bb.12:                               ;   in Loop: Header=BB49_10 Depth=1
	global_load_dwordx2 v[13:14], v[7:8], off
	v_mov_b32_e32 v16, 5
	s_waitcnt vmcnt(0)
	v_subrev_u32_e32 v18, s12, v13
	v_cmp_lt_i32_e64 s[0:1], -1, v18
	v_cmp_gt_i32_e64 s[2:3], s17, v18
	s_and_b64 s[0:1], s[0:1], s[2:3]
	v_cmp_ne_u32_e32 vcc, v14, v13
	s_xor_b64 s[0:1], s[0:1], -1
	s_or_b64 s[0:1], vcc, s[0:1]
	s_andn2_b64 s[2:3], s[38:39], exec
	s_and_b64 s[0:1], s[0:1], exec
	s_or_b64 s[2:3], s[2:3], s[0:1]
.LBB49_13:                              ;   in Loop: Header=BB49_10 Depth=1
	s_or_b64 exec, exec, s[30:31]
	s_mov_b64 s[0:1], -1
	s_mov_b64 s[34:35], -1
	s_and_saveexec_b64 s[30:31], s[2:3]
	s_cbranch_execz .LBB49_8
; %bb.14:                               ;   in Loop: Header=BB49_10 Depth=1
	global_load_dwordx2 v[13:14], v[11:12], off offset:-4
	v_mov_b32_e32 v16, 1
	s_mov_b64 s[2:3], -1
	s_mov_b64 s[36:37], -1
	s_waitcnt vmcnt(0)
	v_cmp_neq_f32_e32 vcc, s13, v13
	v_cmp_neq_f32_e64 s[0:1], s13, v14
	s_and_b64 s[0:1], vcc, s[0:1]
	s_and_saveexec_b64 s[34:35], s[0:1]
	s_cbranch_execz .LBB49_7
; %bb.15:                               ;   in Loop: Header=BB49_10 Depth=1
	v_cmp_o_f32_e32 vcc, v13, v14
	v_mov_b32_e32 v16, 2
	s_mov_b64 s[0:1], -1
	s_and_saveexec_b64 s[36:37], vcc
	s_cbranch_execz .LBB49_6
; %bb.16:                               ;   in Loop: Header=BB49_10 Depth=1
	s_and_b64 vcc, exec, s[20:21]
	s_cbranch_vccz .LBB49_19
; %bb.17:                               ;   in Loop: Header=BB49_10 Depth=1
	s_and_b64 vcc, exec, s[22:23]
	s_cbranch_vccz .LBB49_20
; %bb.18:                               ;   in Loop: Header=BB49_10 Depth=1
	v_cmp_le_i32_e32 vcc, v15, v17
	s_mov_b32 s16, 7
	s_and_b64 s[2:3], vcc, exec
	s_cbranch_execz .LBB49_21
	s_branch .LBB49_22
.LBB49_19:                              ;   in Loop: Header=BB49_10 Depth=1
	s_mov_b32 s16, 2
	s_branch .LBB49_22
.LBB49_20:                              ;   in Loop: Header=BB49_10 Depth=1
	s_mov_b64 s[2:3], 0
	s_mov_b32 s16, 2
.LBB49_21:                              ;   in Loop: Header=BB49_10 Depth=1
	v_cmp_ge_i32_e32 vcc, v15, v17
	s_andn2_b64 s[2:3], s[2:3], exec
	s_and_b64 s[40:41], vcc, exec
	s_mov_b32 s16, 7
	s_or_b64 s[2:3], s[2:3], s[40:41]
.LBB49_22:                              ;   in Loop: Header=BB49_10 Depth=1
	v_mov_b32_e32 v16, s16
	s_mov_b64 s[42:43], -1
	s_and_saveexec_b64 s[40:41], s[2:3]
	s_cbranch_execz .LBB49_5
; %bb.23:                               ;   in Loop: Header=BB49_10 Depth=1
	s_nor_b64 s[0:1], s[14:15], s[38:39]
	s_mov_b64 s[38:39], -1
	v_mov_b32_e32 v16, s16
	s_and_saveexec_b64 s[44:45], s[0:1]
	s_cbranch_execz .LBB49_25
; %bb.24:                               ;   in Loop: Header=BB49_10 Depth=1
	global_load_dword v13, v[9:10], off
	v_mov_b32_e32 v16, 6
	s_waitcnt vmcnt(0)
	v_subrev_u32_e32 v14, s12, v13
	v_cmp_lt_i32_e64 s[0:1], -1, v14
	v_cmp_gt_i32_e64 s[2:3], s17, v14
	s_and_b64 s[0:1], s[0:1], s[2:3]
	v_cmp_gt_i32_e32 vcc, v0, v13
	s_xor_b64 s[0:1], s[0:1], -1
	s_or_b64 s[0:1], vcc, s[0:1]
	s_orn2_b64 s[42:43], s[0:1], exec
.LBB49_25:                              ;   in Loop: Header=BB49_10 Depth=1
	s_or_b64 exec, exec, s[44:45]
	s_mov_b64 s[2:3], -1
	s_and_saveexec_b64 s[0:1], s[42:43]
	s_cbranch_execz .LBB49_4
; %bb.26:                               ;   in Loop: Header=BB49_10 Depth=1
	v_add_co_u32_e32 v5, vcc, 32, v5
	v_addc_co_u32_e32 v6, vcc, 0, v6, vcc
	v_add_co_u32_e32 v7, vcc, 0x80, v7
	v_addc_co_u32_e32 v8, vcc, 0, v8, vcc
	;; [unrolled: 2-line block ×4, first 2 shown]
	v_cmp_ge_i64_e32 vcc, v[5:6], v[3:4]
	s_xor_b64 s[2:3], exec, -1
	s_orn2_b64 s[38:39], vcc, exec
	s_branch .LBB49_4
.LBB49_27:
	s_or_b64 exec, exec, s[8:9]
	s_and_b64 s[8:9], s[10:11], exec
.LBB49_28:
	s_or_b64 exec, exec, s[18:19]
	s_orn2_b64 s[10:11], s[8:9], exec
.LBB49_29:
	s_or_b64 exec, exec, s[6:7]
	s_and_b64 exec, exec, s[10:11]
	s_cbranch_execz .LBB49_31
; %bb.30:
	s_load_dwordx2 s[0:1], s[4:5], 0x40
	v_mov_b32_e32 v0, 0
	s_waitcnt lgkmcnt(0)
	global_store_dword v0, v16, s[0:1]
.LBB49_31:
	s_endpgm
	.section	.rodata,"a",@progbits
	.p2align	6, 0x0
	.amdhsa_kernel _ZN9rocsparseL23check_matrix_csr_deviceILj256ELj32E21rocsparse_complex_numIfEliEEvT3_S3_T2_PKT1_PKS4_PKS3_SB_21rocsparse_index_base_22rocsparse_matrix_type_20rocsparse_fill_mode_23rocsparse_storage_mode_P22rocsparse_data_status_
		.amdhsa_group_segment_fixed_size 0
		.amdhsa_private_segment_fixed_size 0
		.amdhsa_kernarg_size 72
		.amdhsa_user_sgpr_count 6
		.amdhsa_user_sgpr_private_segment_buffer 1
		.amdhsa_user_sgpr_dispatch_ptr 0
		.amdhsa_user_sgpr_queue_ptr 0
		.amdhsa_user_sgpr_kernarg_segment_ptr 1
		.amdhsa_user_sgpr_dispatch_id 0
		.amdhsa_user_sgpr_flat_scratch_init 0
		.amdhsa_user_sgpr_private_segment_size 0
		.amdhsa_uses_dynamic_stack 0
		.amdhsa_system_sgpr_private_segment_wavefront_offset 0
		.amdhsa_system_sgpr_workgroup_id_x 1
		.amdhsa_system_sgpr_workgroup_id_y 0
		.amdhsa_system_sgpr_workgroup_id_z 0
		.amdhsa_system_sgpr_workgroup_info 0
		.amdhsa_system_vgpr_workitem_id 0
		.amdhsa_next_free_vgpr 19
		.amdhsa_next_free_sgpr 46
		.amdhsa_reserve_vcc 1
		.amdhsa_reserve_flat_scratch 0
		.amdhsa_float_round_mode_32 0
		.amdhsa_float_round_mode_16_64 0
		.amdhsa_float_denorm_mode_32 3
		.amdhsa_float_denorm_mode_16_64 3
		.amdhsa_dx10_clamp 1
		.amdhsa_ieee_mode 1
		.amdhsa_fp16_overflow 0
		.amdhsa_exception_fp_ieee_invalid_op 0
		.amdhsa_exception_fp_denorm_src 0
		.amdhsa_exception_fp_ieee_div_zero 0
		.amdhsa_exception_fp_ieee_overflow 0
		.amdhsa_exception_fp_ieee_underflow 0
		.amdhsa_exception_fp_ieee_inexact 0
		.amdhsa_exception_int_div_zero 0
	.end_amdhsa_kernel
	.section	.text._ZN9rocsparseL23check_matrix_csr_deviceILj256ELj32E21rocsparse_complex_numIfEliEEvT3_S3_T2_PKT1_PKS4_PKS3_SB_21rocsparse_index_base_22rocsparse_matrix_type_20rocsparse_fill_mode_23rocsparse_storage_mode_P22rocsparse_data_status_,"axG",@progbits,_ZN9rocsparseL23check_matrix_csr_deviceILj256ELj32E21rocsparse_complex_numIfEliEEvT3_S3_T2_PKT1_PKS4_PKS3_SB_21rocsparse_index_base_22rocsparse_matrix_type_20rocsparse_fill_mode_23rocsparse_storage_mode_P22rocsparse_data_status_,comdat
.Lfunc_end49:
	.size	_ZN9rocsparseL23check_matrix_csr_deviceILj256ELj32E21rocsparse_complex_numIfEliEEvT3_S3_T2_PKT1_PKS4_PKS3_SB_21rocsparse_index_base_22rocsparse_matrix_type_20rocsparse_fill_mode_23rocsparse_storage_mode_P22rocsparse_data_status_, .Lfunc_end49-_ZN9rocsparseL23check_matrix_csr_deviceILj256ELj32E21rocsparse_complex_numIfEliEEvT3_S3_T2_PKT1_PKS4_PKS3_SB_21rocsparse_index_base_22rocsparse_matrix_type_20rocsparse_fill_mode_23rocsparse_storage_mode_P22rocsparse_data_status_
                                        ; -- End function
	.set _ZN9rocsparseL23check_matrix_csr_deviceILj256ELj32E21rocsparse_complex_numIfEliEEvT3_S3_T2_PKT1_PKS4_PKS3_SB_21rocsparse_index_base_22rocsparse_matrix_type_20rocsparse_fill_mode_23rocsparse_storage_mode_P22rocsparse_data_status_.num_vgpr, 19
	.set _ZN9rocsparseL23check_matrix_csr_deviceILj256ELj32E21rocsparse_complex_numIfEliEEvT3_S3_T2_PKT1_PKS4_PKS3_SB_21rocsparse_index_base_22rocsparse_matrix_type_20rocsparse_fill_mode_23rocsparse_storage_mode_P22rocsparse_data_status_.num_agpr, 0
	.set _ZN9rocsparseL23check_matrix_csr_deviceILj256ELj32E21rocsparse_complex_numIfEliEEvT3_S3_T2_PKT1_PKS4_PKS3_SB_21rocsparse_index_base_22rocsparse_matrix_type_20rocsparse_fill_mode_23rocsparse_storage_mode_P22rocsparse_data_status_.numbered_sgpr, 46
	.set _ZN9rocsparseL23check_matrix_csr_deviceILj256ELj32E21rocsparse_complex_numIfEliEEvT3_S3_T2_PKT1_PKS4_PKS3_SB_21rocsparse_index_base_22rocsparse_matrix_type_20rocsparse_fill_mode_23rocsparse_storage_mode_P22rocsparse_data_status_.num_named_barrier, 0
	.set _ZN9rocsparseL23check_matrix_csr_deviceILj256ELj32E21rocsparse_complex_numIfEliEEvT3_S3_T2_PKT1_PKS4_PKS3_SB_21rocsparse_index_base_22rocsparse_matrix_type_20rocsparse_fill_mode_23rocsparse_storage_mode_P22rocsparse_data_status_.private_seg_size, 0
	.set _ZN9rocsparseL23check_matrix_csr_deviceILj256ELj32E21rocsparse_complex_numIfEliEEvT3_S3_T2_PKT1_PKS4_PKS3_SB_21rocsparse_index_base_22rocsparse_matrix_type_20rocsparse_fill_mode_23rocsparse_storage_mode_P22rocsparse_data_status_.uses_vcc, 1
	.set _ZN9rocsparseL23check_matrix_csr_deviceILj256ELj32E21rocsparse_complex_numIfEliEEvT3_S3_T2_PKT1_PKS4_PKS3_SB_21rocsparse_index_base_22rocsparse_matrix_type_20rocsparse_fill_mode_23rocsparse_storage_mode_P22rocsparse_data_status_.uses_flat_scratch, 0
	.set _ZN9rocsparseL23check_matrix_csr_deviceILj256ELj32E21rocsparse_complex_numIfEliEEvT3_S3_T2_PKT1_PKS4_PKS3_SB_21rocsparse_index_base_22rocsparse_matrix_type_20rocsparse_fill_mode_23rocsparse_storage_mode_P22rocsparse_data_status_.has_dyn_sized_stack, 0
	.set _ZN9rocsparseL23check_matrix_csr_deviceILj256ELj32E21rocsparse_complex_numIfEliEEvT3_S3_T2_PKT1_PKS4_PKS3_SB_21rocsparse_index_base_22rocsparse_matrix_type_20rocsparse_fill_mode_23rocsparse_storage_mode_P22rocsparse_data_status_.has_recursion, 0
	.set _ZN9rocsparseL23check_matrix_csr_deviceILj256ELj32E21rocsparse_complex_numIfEliEEvT3_S3_T2_PKT1_PKS4_PKS3_SB_21rocsparse_index_base_22rocsparse_matrix_type_20rocsparse_fill_mode_23rocsparse_storage_mode_P22rocsparse_data_status_.has_indirect_call, 0
	.section	.AMDGPU.csdata,"",@progbits
; Kernel info:
; codeLenInByte = 940
; TotalNumSgprs: 50
; NumVgprs: 19
; ScratchSize: 0
; MemoryBound: 0
; FloatMode: 240
; IeeeMode: 1
; LDSByteSize: 0 bytes/workgroup (compile time only)
; SGPRBlocks: 6
; VGPRBlocks: 4
; NumSGPRsForWavesPerEU: 50
; NumVGPRsForWavesPerEU: 19
; Occupancy: 10
; WaveLimiterHint : 0
; COMPUTE_PGM_RSRC2:SCRATCH_EN: 0
; COMPUTE_PGM_RSRC2:USER_SGPR: 6
; COMPUTE_PGM_RSRC2:TRAP_HANDLER: 0
; COMPUTE_PGM_RSRC2:TGID_X_EN: 1
; COMPUTE_PGM_RSRC2:TGID_Y_EN: 0
; COMPUTE_PGM_RSRC2:TGID_Z_EN: 0
; COMPUTE_PGM_RSRC2:TIDIG_COMP_CNT: 0
	.section	.text._ZN9rocsparseL23check_matrix_csr_deviceILj256ELj64E21rocsparse_complex_numIfEliEEvT3_S3_T2_PKT1_PKS4_PKS3_SB_21rocsparse_index_base_22rocsparse_matrix_type_20rocsparse_fill_mode_23rocsparse_storage_mode_P22rocsparse_data_status_,"axG",@progbits,_ZN9rocsparseL23check_matrix_csr_deviceILj256ELj64E21rocsparse_complex_numIfEliEEvT3_S3_T2_PKT1_PKS4_PKS3_SB_21rocsparse_index_base_22rocsparse_matrix_type_20rocsparse_fill_mode_23rocsparse_storage_mode_P22rocsparse_data_status_,comdat
	.globl	_ZN9rocsparseL23check_matrix_csr_deviceILj256ELj64E21rocsparse_complex_numIfEliEEvT3_S3_T2_PKT1_PKS4_PKS3_SB_21rocsparse_index_base_22rocsparse_matrix_type_20rocsparse_fill_mode_23rocsparse_storage_mode_P22rocsparse_data_status_ ; -- Begin function _ZN9rocsparseL23check_matrix_csr_deviceILj256ELj64E21rocsparse_complex_numIfEliEEvT3_S3_T2_PKT1_PKS4_PKS3_SB_21rocsparse_index_base_22rocsparse_matrix_type_20rocsparse_fill_mode_23rocsparse_storage_mode_P22rocsparse_data_status_
	.p2align	8
	.type	_ZN9rocsparseL23check_matrix_csr_deviceILj256ELj64E21rocsparse_complex_numIfEliEEvT3_S3_T2_PKT1_PKS4_PKS3_SB_21rocsparse_index_base_22rocsparse_matrix_type_20rocsparse_fill_mode_23rocsparse_storage_mode_P22rocsparse_data_status_,@function
_ZN9rocsparseL23check_matrix_csr_deviceILj256ELj64E21rocsparse_complex_numIfEliEEvT3_S3_T2_PKT1_PKS4_PKS3_SB_21rocsparse_index_base_22rocsparse_matrix_type_20rocsparse_fill_mode_23rocsparse_storage_mode_P22rocsparse_data_status_: ; @_ZN9rocsparseL23check_matrix_csr_deviceILj256ELj64E21rocsparse_complex_numIfEliEEvT3_S3_T2_PKT1_PKS4_PKS3_SB_21rocsparse_index_base_22rocsparse_matrix_type_20rocsparse_fill_mode_23rocsparse_storage_mode_P22rocsparse_data_status_
; %bb.0:
	s_load_dwordx2 s[16:17], s[4:5], 0x0
	v_lshl_or_b32 v1, s6, 8, v0
	v_lshrrev_b32_e32 v15, 6, v1
	s_waitcnt lgkmcnt(0)
	v_cmp_gt_i32_e32 vcc, s16, v15
	s_and_saveexec_b64 s[0:1], vcc
	s_cbranch_execz .LBB50_31
; %bb.1:
	s_load_dwordx2 s[0:1], s[4:5], 0x18
	v_lshlrev_b32_e32 v1, 3, v15
	v_mov_b32_e32 v16, 3
	s_mov_b64 s[10:11], -1
	s_mov_b64 s[8:9], 0
	s_waitcnt lgkmcnt(0)
	global_load_dwordx4 v[5:8], v1, s[0:1]
	s_load_dwordx2 s[0:1], s[0:1], 0x0
	s_waitcnt lgkmcnt(0)
	v_mov_b32_e32 v4, s1
	s_waitcnt vmcnt(0)
	v_subrev_co_u32_e32 v1, vcc, s0, v5
	v_subb_co_u32_e32 v2, vcc, v6, v4, vcc
	v_subrev_co_u32_e32 v3, vcc, s0, v7
	v_subb_co_u32_e32 v4, vcc, v8, v4, vcc
	v_cmp_gt_i64_e64 s[0:1], 0, v[3:4]
	v_cmp_lt_i64_e64 s[2:3], v[7:8], v[5:6]
	v_cmp_lt_i64_e32 vcc, -1, v[1:2]
	s_or_b64 s[0:1], s[0:1], s[2:3]
	s_xor_b64 s[0:1], s[0:1], -1
	s_and_b64 s[0:1], vcc, s[0:1]
	s_and_saveexec_b64 s[6:7], s[0:1]
	s_cbranch_execz .LBB50_29
; %bb.2:
	v_and_b32_e32 v0, 63, v0
	v_add_co_u32_e32 v5, vcc, v1, v0
	v_addc_co_u32_e32 v6, vcc, 0, v2, vcc
	v_cmp_lt_u64_e32 vcc, v[5:6], v[3:4]
	v_mov_b32_e32 v16, 3
	s_and_saveexec_b64 s[18:19], vcc
	s_cbranch_execz .LBB50_28
; %bb.3:
	s_load_dwordx8 s[8:15], s[4:5], 0x20
	s_load_dwordx2 s[0:1], s[4:5], 0x10
	v_lshlrev_b64 v[7:8], 2, v[5:6]
                                        ; implicit-def: $sgpr24_sgpr25
                                        ; implicit-def: $sgpr26_sgpr27
	v_add_co_u32_e32 v0, vcc, -4, v7
	v_addc_co_u32_e32 v10, vcc, -1, v8, vcc
	s_waitcnt lgkmcnt(0)
	v_mov_b32_e32 v8, s11
	v_add_co_u32_e32 v7, vcc, s10, v0
	v_addc_co_u32_e32 v8, vcc, v8, v10, vcc
	v_mov_b32_e32 v11, s9
	v_add_co_u32_e32 v9, vcc, s8, v0
	v_addc_co_u32_e32 v10, vcc, v11, v10, vcc
	v_lshlrev_b64 v[11:12], 3, v[5:6]
	s_cmp_lg_u32 s13, 0
	v_mov_b32_e32 v0, s1
	v_add_co_u32_e32 v11, vcc, s0, v11
	s_cselect_b64 s[20:21], -1, 0
	s_cmp_lg_u32 s14, 0
	v_addc_co_u32_e32 v0, vcc, v0, v12, vcc
	s_cselect_b64 s[22:23], -1, 0
	s_cmp_lg_u32 s15, 0
	v_add_co_u32_e32 v11, vcc, 4, v11
	s_cselect_b64 s[14:15], -1, 0
	v_addc_co_u32_e32 v12, vcc, 0, v0, vcc
	s_mov_b64 s[8:9], 0
	s_mov_b32 s13, 0x7f800000
                                        ; implicit-def: $sgpr10_sgpr11
	s_branch .LBB50_10
.LBB50_4:                               ;   in Loop: Header=BB50_10 Depth=1
	s_or_b64 exec, exec, s[0:1]
	s_orn2_b64 s[42:43], s[2:3], exec
	s_orn2_b64 s[0:1], s[38:39], exec
.LBB50_5:                               ;   in Loop: Header=BB50_10 Depth=1
	s_or_b64 exec, exec, s[40:41]
	s_orn2_b64 s[2:3], s[42:43], exec
	s_orn2_b64 s[0:1], s[0:1], exec
.LBB50_6:                               ;   in Loop: Header=BB50_10 Depth=1
	s_or_b64 exec, exec, s[36:37]
	s_orn2_b64 s[36:37], s[2:3], exec
	s_orn2_b64 s[2:3], s[0:1], exec
.LBB50_7:                               ;   in Loop: Header=BB50_10 Depth=1
	s_or_b64 exec, exec, s[34:35]
	s_orn2_b64 s[34:35], s[36:37], exec
	s_orn2_b64 s[0:1], s[2:3], exec
.LBB50_8:                               ;   in Loop: Header=BB50_10 Depth=1
	s_or_b64 exec, exec, s[30:31]
	s_andn2_b64 s[2:3], s[26:27], exec
	s_and_b64 s[26:27], s[34:35], exec
	s_or_b64 s[26:27], s[2:3], s[26:27]
	s_andn2_b64 s[2:3], s[24:25], exec
	s_and_b64 s[0:1], s[0:1], exec
	s_or_b64 s[24:25], s[2:3], s[0:1]
.LBB50_9:                               ;   in Loop: Header=BB50_10 Depth=1
	s_or_b64 exec, exec, s[28:29]
	s_and_b64 s[0:1], exec, s[24:25]
	s_or_b64 s[8:9], s[0:1], s[8:9]
	s_andn2_b64 s[0:1], s[10:11], exec
	s_and_b64 s[2:3], s[26:27], exec
	s_or_b64 s[10:11], s[0:1], s[2:3]
	s_andn2_b64 exec, exec, s[8:9]
	s_cbranch_execz .LBB50_27
.LBB50_10:                              ; =>This Inner Loop Header: Depth=1
	global_load_dword v0, v[9:10], off offset:4
	v_mov_b32_e32 v16, 4
	s_or_b64 s[26:27], s[26:27], exec
	s_or_b64 s[24:25], s[24:25], exec
	s_waitcnt vmcnt(0)
	v_subrev_u32_e32 v17, s12, v0
	v_cmp_lt_i32_e32 vcc, -1, v17
	v_cmp_gt_i32_e64 s[0:1], s17, v17
	s_and_b64 s[0:1], vcc, s[0:1]
	s_and_saveexec_b64 s[28:29], s[0:1]
	s_cbranch_execz .LBB50_9
; %bb.11:                               ;   in Loop: Header=BB50_10 Depth=1
	v_cmp_le_i64_e64 s[38:39], v[5:6], v[1:2]
	v_cmp_gt_i64_e32 vcc, v[5:6], v[1:2]
	v_mov_b32_e32 v16, 4
	s_mov_b64 s[2:3], s[38:39]
	s_and_saveexec_b64 s[30:31], vcc
	s_cbranch_execz .LBB50_13
; %bb.12:                               ;   in Loop: Header=BB50_10 Depth=1
	global_load_dwordx2 v[13:14], v[7:8], off
	v_mov_b32_e32 v16, 5
	s_waitcnt vmcnt(0)
	v_subrev_u32_e32 v18, s12, v13
	v_cmp_lt_i32_e64 s[0:1], -1, v18
	v_cmp_gt_i32_e64 s[2:3], s17, v18
	s_and_b64 s[0:1], s[0:1], s[2:3]
	v_cmp_ne_u32_e32 vcc, v14, v13
	s_xor_b64 s[0:1], s[0:1], -1
	s_or_b64 s[0:1], vcc, s[0:1]
	s_andn2_b64 s[2:3], s[38:39], exec
	s_and_b64 s[0:1], s[0:1], exec
	s_or_b64 s[2:3], s[2:3], s[0:1]
.LBB50_13:                              ;   in Loop: Header=BB50_10 Depth=1
	s_or_b64 exec, exec, s[30:31]
	s_mov_b64 s[0:1], -1
	s_mov_b64 s[34:35], -1
	s_and_saveexec_b64 s[30:31], s[2:3]
	s_cbranch_execz .LBB50_8
; %bb.14:                               ;   in Loop: Header=BB50_10 Depth=1
	global_load_dwordx2 v[13:14], v[11:12], off offset:-4
	v_mov_b32_e32 v16, 1
	s_mov_b64 s[2:3], -1
	s_mov_b64 s[36:37], -1
	s_waitcnt vmcnt(0)
	v_cmp_neq_f32_e32 vcc, s13, v13
	v_cmp_neq_f32_e64 s[0:1], s13, v14
	s_and_b64 s[0:1], vcc, s[0:1]
	s_and_saveexec_b64 s[34:35], s[0:1]
	s_cbranch_execz .LBB50_7
; %bb.15:                               ;   in Loop: Header=BB50_10 Depth=1
	v_cmp_o_f32_e32 vcc, v13, v14
	v_mov_b32_e32 v16, 2
	s_mov_b64 s[0:1], -1
	s_and_saveexec_b64 s[36:37], vcc
	s_cbranch_execz .LBB50_6
; %bb.16:                               ;   in Loop: Header=BB50_10 Depth=1
	s_and_b64 vcc, exec, s[20:21]
	s_cbranch_vccz .LBB50_19
; %bb.17:                               ;   in Loop: Header=BB50_10 Depth=1
	s_and_b64 vcc, exec, s[22:23]
	s_cbranch_vccz .LBB50_20
; %bb.18:                               ;   in Loop: Header=BB50_10 Depth=1
	v_cmp_le_i32_e32 vcc, v15, v17
	s_mov_b32 s16, 7
	s_and_b64 s[2:3], vcc, exec
	s_cbranch_execz .LBB50_21
	s_branch .LBB50_22
.LBB50_19:                              ;   in Loop: Header=BB50_10 Depth=1
	s_mov_b32 s16, 2
	s_branch .LBB50_22
.LBB50_20:                              ;   in Loop: Header=BB50_10 Depth=1
	s_mov_b64 s[2:3], 0
	s_mov_b32 s16, 2
.LBB50_21:                              ;   in Loop: Header=BB50_10 Depth=1
	v_cmp_ge_i32_e32 vcc, v15, v17
	s_andn2_b64 s[2:3], s[2:3], exec
	s_and_b64 s[40:41], vcc, exec
	s_mov_b32 s16, 7
	s_or_b64 s[2:3], s[2:3], s[40:41]
.LBB50_22:                              ;   in Loop: Header=BB50_10 Depth=1
	v_mov_b32_e32 v16, s16
	s_mov_b64 s[42:43], -1
	s_and_saveexec_b64 s[40:41], s[2:3]
	s_cbranch_execz .LBB50_5
; %bb.23:                               ;   in Loop: Header=BB50_10 Depth=1
	s_nor_b64 s[0:1], s[14:15], s[38:39]
	s_mov_b64 s[38:39], -1
	v_mov_b32_e32 v16, s16
	s_and_saveexec_b64 s[44:45], s[0:1]
	s_cbranch_execz .LBB50_25
; %bb.24:                               ;   in Loop: Header=BB50_10 Depth=1
	global_load_dword v13, v[9:10], off
	v_mov_b32_e32 v16, 6
	s_waitcnt vmcnt(0)
	v_subrev_u32_e32 v14, s12, v13
	v_cmp_lt_i32_e64 s[0:1], -1, v14
	v_cmp_gt_i32_e64 s[2:3], s17, v14
	s_and_b64 s[0:1], s[0:1], s[2:3]
	v_cmp_gt_i32_e32 vcc, v0, v13
	s_xor_b64 s[0:1], s[0:1], -1
	s_or_b64 s[0:1], vcc, s[0:1]
	s_orn2_b64 s[42:43], s[0:1], exec
.LBB50_25:                              ;   in Loop: Header=BB50_10 Depth=1
	s_or_b64 exec, exec, s[44:45]
	s_mov_b64 s[2:3], -1
	s_and_saveexec_b64 s[0:1], s[42:43]
	s_cbranch_execz .LBB50_4
; %bb.26:                               ;   in Loop: Header=BB50_10 Depth=1
	v_add_co_u32_e32 v5, vcc, 64, v5
	v_addc_co_u32_e32 v6, vcc, 0, v6, vcc
	v_add_co_u32_e32 v7, vcc, 0x100, v7
	v_addc_co_u32_e32 v8, vcc, 0, v8, vcc
	;; [unrolled: 2-line block ×4, first 2 shown]
	v_cmp_ge_i64_e32 vcc, v[5:6], v[3:4]
	s_xor_b64 s[2:3], exec, -1
	s_orn2_b64 s[38:39], vcc, exec
	s_branch .LBB50_4
.LBB50_27:
	s_or_b64 exec, exec, s[8:9]
	s_and_b64 s[8:9], s[10:11], exec
.LBB50_28:
	s_or_b64 exec, exec, s[18:19]
	s_orn2_b64 s[10:11], s[8:9], exec
.LBB50_29:
	s_or_b64 exec, exec, s[6:7]
	s_and_b64 exec, exec, s[10:11]
	s_cbranch_execz .LBB50_31
; %bb.30:
	s_load_dwordx2 s[0:1], s[4:5], 0x40
	v_mov_b32_e32 v0, 0
	s_waitcnt lgkmcnt(0)
	global_store_dword v0, v16, s[0:1]
.LBB50_31:
	s_endpgm
	.section	.rodata,"a",@progbits
	.p2align	6, 0x0
	.amdhsa_kernel _ZN9rocsparseL23check_matrix_csr_deviceILj256ELj64E21rocsparse_complex_numIfEliEEvT3_S3_T2_PKT1_PKS4_PKS3_SB_21rocsparse_index_base_22rocsparse_matrix_type_20rocsparse_fill_mode_23rocsparse_storage_mode_P22rocsparse_data_status_
		.amdhsa_group_segment_fixed_size 0
		.amdhsa_private_segment_fixed_size 0
		.amdhsa_kernarg_size 72
		.amdhsa_user_sgpr_count 6
		.amdhsa_user_sgpr_private_segment_buffer 1
		.amdhsa_user_sgpr_dispatch_ptr 0
		.amdhsa_user_sgpr_queue_ptr 0
		.amdhsa_user_sgpr_kernarg_segment_ptr 1
		.amdhsa_user_sgpr_dispatch_id 0
		.amdhsa_user_sgpr_flat_scratch_init 0
		.amdhsa_user_sgpr_private_segment_size 0
		.amdhsa_uses_dynamic_stack 0
		.amdhsa_system_sgpr_private_segment_wavefront_offset 0
		.amdhsa_system_sgpr_workgroup_id_x 1
		.amdhsa_system_sgpr_workgroup_id_y 0
		.amdhsa_system_sgpr_workgroup_id_z 0
		.amdhsa_system_sgpr_workgroup_info 0
		.amdhsa_system_vgpr_workitem_id 0
		.amdhsa_next_free_vgpr 19
		.amdhsa_next_free_sgpr 46
		.amdhsa_reserve_vcc 1
		.amdhsa_reserve_flat_scratch 0
		.amdhsa_float_round_mode_32 0
		.amdhsa_float_round_mode_16_64 0
		.amdhsa_float_denorm_mode_32 3
		.amdhsa_float_denorm_mode_16_64 3
		.amdhsa_dx10_clamp 1
		.amdhsa_ieee_mode 1
		.amdhsa_fp16_overflow 0
		.amdhsa_exception_fp_ieee_invalid_op 0
		.amdhsa_exception_fp_denorm_src 0
		.amdhsa_exception_fp_ieee_div_zero 0
		.amdhsa_exception_fp_ieee_overflow 0
		.amdhsa_exception_fp_ieee_underflow 0
		.amdhsa_exception_fp_ieee_inexact 0
		.amdhsa_exception_int_div_zero 0
	.end_amdhsa_kernel
	.section	.text._ZN9rocsparseL23check_matrix_csr_deviceILj256ELj64E21rocsparse_complex_numIfEliEEvT3_S3_T2_PKT1_PKS4_PKS3_SB_21rocsparse_index_base_22rocsparse_matrix_type_20rocsparse_fill_mode_23rocsparse_storage_mode_P22rocsparse_data_status_,"axG",@progbits,_ZN9rocsparseL23check_matrix_csr_deviceILj256ELj64E21rocsparse_complex_numIfEliEEvT3_S3_T2_PKT1_PKS4_PKS3_SB_21rocsparse_index_base_22rocsparse_matrix_type_20rocsparse_fill_mode_23rocsparse_storage_mode_P22rocsparse_data_status_,comdat
.Lfunc_end50:
	.size	_ZN9rocsparseL23check_matrix_csr_deviceILj256ELj64E21rocsparse_complex_numIfEliEEvT3_S3_T2_PKT1_PKS4_PKS3_SB_21rocsparse_index_base_22rocsparse_matrix_type_20rocsparse_fill_mode_23rocsparse_storage_mode_P22rocsparse_data_status_, .Lfunc_end50-_ZN9rocsparseL23check_matrix_csr_deviceILj256ELj64E21rocsparse_complex_numIfEliEEvT3_S3_T2_PKT1_PKS4_PKS3_SB_21rocsparse_index_base_22rocsparse_matrix_type_20rocsparse_fill_mode_23rocsparse_storage_mode_P22rocsparse_data_status_
                                        ; -- End function
	.set _ZN9rocsparseL23check_matrix_csr_deviceILj256ELj64E21rocsparse_complex_numIfEliEEvT3_S3_T2_PKT1_PKS4_PKS3_SB_21rocsparse_index_base_22rocsparse_matrix_type_20rocsparse_fill_mode_23rocsparse_storage_mode_P22rocsparse_data_status_.num_vgpr, 19
	.set _ZN9rocsparseL23check_matrix_csr_deviceILj256ELj64E21rocsparse_complex_numIfEliEEvT3_S3_T2_PKT1_PKS4_PKS3_SB_21rocsparse_index_base_22rocsparse_matrix_type_20rocsparse_fill_mode_23rocsparse_storage_mode_P22rocsparse_data_status_.num_agpr, 0
	.set _ZN9rocsparseL23check_matrix_csr_deviceILj256ELj64E21rocsparse_complex_numIfEliEEvT3_S3_T2_PKT1_PKS4_PKS3_SB_21rocsparse_index_base_22rocsparse_matrix_type_20rocsparse_fill_mode_23rocsparse_storage_mode_P22rocsparse_data_status_.numbered_sgpr, 46
	.set _ZN9rocsparseL23check_matrix_csr_deviceILj256ELj64E21rocsparse_complex_numIfEliEEvT3_S3_T2_PKT1_PKS4_PKS3_SB_21rocsparse_index_base_22rocsparse_matrix_type_20rocsparse_fill_mode_23rocsparse_storage_mode_P22rocsparse_data_status_.num_named_barrier, 0
	.set _ZN9rocsparseL23check_matrix_csr_deviceILj256ELj64E21rocsparse_complex_numIfEliEEvT3_S3_T2_PKT1_PKS4_PKS3_SB_21rocsparse_index_base_22rocsparse_matrix_type_20rocsparse_fill_mode_23rocsparse_storage_mode_P22rocsparse_data_status_.private_seg_size, 0
	.set _ZN9rocsparseL23check_matrix_csr_deviceILj256ELj64E21rocsparse_complex_numIfEliEEvT3_S3_T2_PKT1_PKS4_PKS3_SB_21rocsparse_index_base_22rocsparse_matrix_type_20rocsparse_fill_mode_23rocsparse_storage_mode_P22rocsparse_data_status_.uses_vcc, 1
	.set _ZN9rocsparseL23check_matrix_csr_deviceILj256ELj64E21rocsparse_complex_numIfEliEEvT3_S3_T2_PKT1_PKS4_PKS3_SB_21rocsparse_index_base_22rocsparse_matrix_type_20rocsparse_fill_mode_23rocsparse_storage_mode_P22rocsparse_data_status_.uses_flat_scratch, 0
	.set _ZN9rocsparseL23check_matrix_csr_deviceILj256ELj64E21rocsparse_complex_numIfEliEEvT3_S3_T2_PKT1_PKS4_PKS3_SB_21rocsparse_index_base_22rocsparse_matrix_type_20rocsparse_fill_mode_23rocsparse_storage_mode_P22rocsparse_data_status_.has_dyn_sized_stack, 0
	.set _ZN9rocsparseL23check_matrix_csr_deviceILj256ELj64E21rocsparse_complex_numIfEliEEvT3_S3_T2_PKT1_PKS4_PKS3_SB_21rocsparse_index_base_22rocsparse_matrix_type_20rocsparse_fill_mode_23rocsparse_storage_mode_P22rocsparse_data_status_.has_recursion, 0
	.set _ZN9rocsparseL23check_matrix_csr_deviceILj256ELj64E21rocsparse_complex_numIfEliEEvT3_S3_T2_PKT1_PKS4_PKS3_SB_21rocsparse_index_base_22rocsparse_matrix_type_20rocsparse_fill_mode_23rocsparse_storage_mode_P22rocsparse_data_status_.has_indirect_call, 0
	.section	.AMDGPU.csdata,"",@progbits
; Kernel info:
; codeLenInByte = 940
; TotalNumSgprs: 50
; NumVgprs: 19
; ScratchSize: 0
; MemoryBound: 0
; FloatMode: 240
; IeeeMode: 1
; LDSByteSize: 0 bytes/workgroup (compile time only)
; SGPRBlocks: 6
; VGPRBlocks: 4
; NumSGPRsForWavesPerEU: 50
; NumVGPRsForWavesPerEU: 19
; Occupancy: 10
; WaveLimiterHint : 0
; COMPUTE_PGM_RSRC2:SCRATCH_EN: 0
; COMPUTE_PGM_RSRC2:USER_SGPR: 6
; COMPUTE_PGM_RSRC2:TRAP_HANDLER: 0
; COMPUTE_PGM_RSRC2:TGID_X_EN: 1
; COMPUTE_PGM_RSRC2:TGID_Y_EN: 0
; COMPUTE_PGM_RSRC2:TGID_Z_EN: 0
; COMPUTE_PGM_RSRC2:TIDIG_COMP_CNT: 0
	.section	.text._ZN9rocsparseL23check_matrix_csr_deviceILj256ELj128E21rocsparse_complex_numIfEliEEvT3_S3_T2_PKT1_PKS4_PKS3_SB_21rocsparse_index_base_22rocsparse_matrix_type_20rocsparse_fill_mode_23rocsparse_storage_mode_P22rocsparse_data_status_,"axG",@progbits,_ZN9rocsparseL23check_matrix_csr_deviceILj256ELj128E21rocsparse_complex_numIfEliEEvT3_S3_T2_PKT1_PKS4_PKS3_SB_21rocsparse_index_base_22rocsparse_matrix_type_20rocsparse_fill_mode_23rocsparse_storage_mode_P22rocsparse_data_status_,comdat
	.globl	_ZN9rocsparseL23check_matrix_csr_deviceILj256ELj128E21rocsparse_complex_numIfEliEEvT3_S3_T2_PKT1_PKS4_PKS3_SB_21rocsparse_index_base_22rocsparse_matrix_type_20rocsparse_fill_mode_23rocsparse_storage_mode_P22rocsparse_data_status_ ; -- Begin function _ZN9rocsparseL23check_matrix_csr_deviceILj256ELj128E21rocsparse_complex_numIfEliEEvT3_S3_T2_PKT1_PKS4_PKS3_SB_21rocsparse_index_base_22rocsparse_matrix_type_20rocsparse_fill_mode_23rocsparse_storage_mode_P22rocsparse_data_status_
	.p2align	8
	.type	_ZN9rocsparseL23check_matrix_csr_deviceILj256ELj128E21rocsparse_complex_numIfEliEEvT3_S3_T2_PKT1_PKS4_PKS3_SB_21rocsparse_index_base_22rocsparse_matrix_type_20rocsparse_fill_mode_23rocsparse_storage_mode_P22rocsparse_data_status_,@function
_ZN9rocsparseL23check_matrix_csr_deviceILj256ELj128E21rocsparse_complex_numIfEliEEvT3_S3_T2_PKT1_PKS4_PKS3_SB_21rocsparse_index_base_22rocsparse_matrix_type_20rocsparse_fill_mode_23rocsparse_storage_mode_P22rocsparse_data_status_: ; @_ZN9rocsparseL23check_matrix_csr_deviceILj256ELj128E21rocsparse_complex_numIfEliEEvT3_S3_T2_PKT1_PKS4_PKS3_SB_21rocsparse_index_base_22rocsparse_matrix_type_20rocsparse_fill_mode_23rocsparse_storage_mode_P22rocsparse_data_status_
; %bb.0:
	s_load_dwordx2 s[16:17], s[4:5], 0x0
	v_lshl_or_b32 v1, s6, 8, v0
	v_lshrrev_b32_e32 v15, 7, v1
	s_waitcnt lgkmcnt(0)
	v_cmp_gt_i32_e32 vcc, s16, v15
	s_and_saveexec_b64 s[0:1], vcc
	s_cbranch_execz .LBB51_31
; %bb.1:
	s_load_dwordx2 s[0:1], s[4:5], 0x18
	v_lshlrev_b32_e32 v1, 3, v15
	v_mov_b32_e32 v16, 3
	s_mov_b64 s[10:11], -1
	s_mov_b64 s[8:9], 0
	s_waitcnt lgkmcnt(0)
	global_load_dwordx4 v[5:8], v1, s[0:1]
	s_load_dwordx2 s[0:1], s[0:1], 0x0
	s_waitcnt lgkmcnt(0)
	v_mov_b32_e32 v4, s1
	s_waitcnt vmcnt(0)
	v_subrev_co_u32_e32 v1, vcc, s0, v5
	v_subb_co_u32_e32 v2, vcc, v6, v4, vcc
	v_subrev_co_u32_e32 v3, vcc, s0, v7
	v_subb_co_u32_e32 v4, vcc, v8, v4, vcc
	v_cmp_gt_i64_e64 s[0:1], 0, v[3:4]
	v_cmp_lt_i64_e64 s[2:3], v[7:8], v[5:6]
	v_cmp_lt_i64_e32 vcc, -1, v[1:2]
	s_or_b64 s[0:1], s[0:1], s[2:3]
	s_xor_b64 s[0:1], s[0:1], -1
	s_and_b64 s[0:1], vcc, s[0:1]
	s_and_saveexec_b64 s[6:7], s[0:1]
	s_cbranch_execz .LBB51_29
; %bb.2:
	v_and_b32_e32 v0, 0x7f, v0
	v_add_co_u32_e32 v5, vcc, v1, v0
	v_addc_co_u32_e32 v6, vcc, 0, v2, vcc
	v_cmp_lt_u64_e32 vcc, v[5:6], v[3:4]
	v_mov_b32_e32 v16, 3
	s_and_saveexec_b64 s[18:19], vcc
	s_cbranch_execz .LBB51_28
; %bb.3:
	s_load_dwordx8 s[8:15], s[4:5], 0x20
	s_load_dwordx2 s[0:1], s[4:5], 0x10
	v_lshlrev_b64 v[7:8], 2, v[5:6]
                                        ; implicit-def: $sgpr24_sgpr25
                                        ; implicit-def: $sgpr26_sgpr27
	v_add_co_u32_e32 v0, vcc, -4, v7
	v_addc_co_u32_e32 v10, vcc, -1, v8, vcc
	s_waitcnt lgkmcnt(0)
	v_mov_b32_e32 v8, s11
	v_add_co_u32_e32 v7, vcc, s10, v0
	v_addc_co_u32_e32 v8, vcc, v8, v10, vcc
	v_mov_b32_e32 v11, s9
	v_add_co_u32_e32 v9, vcc, s8, v0
	v_addc_co_u32_e32 v10, vcc, v11, v10, vcc
	v_lshlrev_b64 v[11:12], 3, v[5:6]
	s_cmp_lg_u32 s13, 0
	v_mov_b32_e32 v0, s1
	v_add_co_u32_e32 v11, vcc, s0, v11
	s_cselect_b64 s[20:21], -1, 0
	s_cmp_lg_u32 s14, 0
	v_addc_co_u32_e32 v0, vcc, v0, v12, vcc
	s_cselect_b64 s[22:23], -1, 0
	s_cmp_lg_u32 s15, 0
	v_add_co_u32_e32 v11, vcc, 4, v11
	s_cselect_b64 s[14:15], -1, 0
	v_addc_co_u32_e32 v12, vcc, 0, v0, vcc
	s_mov_b64 s[8:9], 0
	s_mov_b32 s13, 0x7f800000
                                        ; implicit-def: $sgpr10_sgpr11
	s_branch .LBB51_10
.LBB51_4:                               ;   in Loop: Header=BB51_10 Depth=1
	s_or_b64 exec, exec, s[0:1]
	s_orn2_b64 s[42:43], s[2:3], exec
	s_orn2_b64 s[0:1], s[38:39], exec
.LBB51_5:                               ;   in Loop: Header=BB51_10 Depth=1
	s_or_b64 exec, exec, s[40:41]
	s_orn2_b64 s[2:3], s[42:43], exec
	s_orn2_b64 s[0:1], s[0:1], exec
.LBB51_6:                               ;   in Loop: Header=BB51_10 Depth=1
	s_or_b64 exec, exec, s[36:37]
	s_orn2_b64 s[36:37], s[2:3], exec
	s_orn2_b64 s[2:3], s[0:1], exec
.LBB51_7:                               ;   in Loop: Header=BB51_10 Depth=1
	s_or_b64 exec, exec, s[34:35]
	s_orn2_b64 s[34:35], s[36:37], exec
	s_orn2_b64 s[0:1], s[2:3], exec
.LBB51_8:                               ;   in Loop: Header=BB51_10 Depth=1
	s_or_b64 exec, exec, s[30:31]
	s_andn2_b64 s[2:3], s[26:27], exec
	s_and_b64 s[26:27], s[34:35], exec
	s_or_b64 s[26:27], s[2:3], s[26:27]
	s_andn2_b64 s[2:3], s[24:25], exec
	s_and_b64 s[0:1], s[0:1], exec
	s_or_b64 s[24:25], s[2:3], s[0:1]
.LBB51_9:                               ;   in Loop: Header=BB51_10 Depth=1
	s_or_b64 exec, exec, s[28:29]
	s_and_b64 s[0:1], exec, s[24:25]
	s_or_b64 s[8:9], s[0:1], s[8:9]
	s_andn2_b64 s[0:1], s[10:11], exec
	s_and_b64 s[2:3], s[26:27], exec
	s_or_b64 s[10:11], s[0:1], s[2:3]
	s_andn2_b64 exec, exec, s[8:9]
	s_cbranch_execz .LBB51_27
.LBB51_10:                              ; =>This Inner Loop Header: Depth=1
	global_load_dword v0, v[9:10], off offset:4
	v_mov_b32_e32 v16, 4
	s_or_b64 s[26:27], s[26:27], exec
	s_or_b64 s[24:25], s[24:25], exec
	s_waitcnt vmcnt(0)
	v_subrev_u32_e32 v17, s12, v0
	v_cmp_lt_i32_e32 vcc, -1, v17
	v_cmp_gt_i32_e64 s[0:1], s17, v17
	s_and_b64 s[0:1], vcc, s[0:1]
	s_and_saveexec_b64 s[28:29], s[0:1]
	s_cbranch_execz .LBB51_9
; %bb.11:                               ;   in Loop: Header=BB51_10 Depth=1
	v_cmp_le_i64_e64 s[38:39], v[5:6], v[1:2]
	v_cmp_gt_i64_e32 vcc, v[5:6], v[1:2]
	v_mov_b32_e32 v16, 4
	s_mov_b64 s[2:3], s[38:39]
	s_and_saveexec_b64 s[30:31], vcc
	s_cbranch_execz .LBB51_13
; %bb.12:                               ;   in Loop: Header=BB51_10 Depth=1
	global_load_dwordx2 v[13:14], v[7:8], off
	v_mov_b32_e32 v16, 5
	s_waitcnt vmcnt(0)
	v_subrev_u32_e32 v18, s12, v13
	v_cmp_lt_i32_e64 s[0:1], -1, v18
	v_cmp_gt_i32_e64 s[2:3], s17, v18
	s_and_b64 s[0:1], s[0:1], s[2:3]
	v_cmp_ne_u32_e32 vcc, v14, v13
	s_xor_b64 s[0:1], s[0:1], -1
	s_or_b64 s[0:1], vcc, s[0:1]
	s_andn2_b64 s[2:3], s[38:39], exec
	s_and_b64 s[0:1], s[0:1], exec
	s_or_b64 s[2:3], s[2:3], s[0:1]
.LBB51_13:                              ;   in Loop: Header=BB51_10 Depth=1
	s_or_b64 exec, exec, s[30:31]
	s_mov_b64 s[0:1], -1
	s_mov_b64 s[34:35], -1
	s_and_saveexec_b64 s[30:31], s[2:3]
	s_cbranch_execz .LBB51_8
; %bb.14:                               ;   in Loop: Header=BB51_10 Depth=1
	global_load_dwordx2 v[13:14], v[11:12], off offset:-4
	v_mov_b32_e32 v16, 1
	s_mov_b64 s[2:3], -1
	s_mov_b64 s[36:37], -1
	s_waitcnt vmcnt(0)
	v_cmp_neq_f32_e32 vcc, s13, v13
	v_cmp_neq_f32_e64 s[0:1], s13, v14
	s_and_b64 s[0:1], vcc, s[0:1]
	s_and_saveexec_b64 s[34:35], s[0:1]
	s_cbranch_execz .LBB51_7
; %bb.15:                               ;   in Loop: Header=BB51_10 Depth=1
	v_cmp_o_f32_e32 vcc, v13, v14
	v_mov_b32_e32 v16, 2
	s_mov_b64 s[0:1], -1
	s_and_saveexec_b64 s[36:37], vcc
	s_cbranch_execz .LBB51_6
; %bb.16:                               ;   in Loop: Header=BB51_10 Depth=1
	s_and_b64 vcc, exec, s[20:21]
	s_cbranch_vccz .LBB51_19
; %bb.17:                               ;   in Loop: Header=BB51_10 Depth=1
	s_and_b64 vcc, exec, s[22:23]
	s_cbranch_vccz .LBB51_20
; %bb.18:                               ;   in Loop: Header=BB51_10 Depth=1
	v_cmp_le_i32_e32 vcc, v15, v17
	s_mov_b32 s16, 7
	s_and_b64 s[2:3], vcc, exec
	s_cbranch_execz .LBB51_21
	s_branch .LBB51_22
.LBB51_19:                              ;   in Loop: Header=BB51_10 Depth=1
	s_mov_b32 s16, 2
	s_branch .LBB51_22
.LBB51_20:                              ;   in Loop: Header=BB51_10 Depth=1
	s_mov_b64 s[2:3], 0
	s_mov_b32 s16, 2
.LBB51_21:                              ;   in Loop: Header=BB51_10 Depth=1
	v_cmp_ge_i32_e32 vcc, v15, v17
	s_andn2_b64 s[2:3], s[2:3], exec
	s_and_b64 s[40:41], vcc, exec
	s_mov_b32 s16, 7
	s_or_b64 s[2:3], s[2:3], s[40:41]
.LBB51_22:                              ;   in Loop: Header=BB51_10 Depth=1
	v_mov_b32_e32 v16, s16
	s_mov_b64 s[42:43], -1
	s_and_saveexec_b64 s[40:41], s[2:3]
	s_cbranch_execz .LBB51_5
; %bb.23:                               ;   in Loop: Header=BB51_10 Depth=1
	s_nor_b64 s[0:1], s[14:15], s[38:39]
	s_mov_b64 s[38:39], -1
	v_mov_b32_e32 v16, s16
	s_and_saveexec_b64 s[44:45], s[0:1]
	s_cbranch_execz .LBB51_25
; %bb.24:                               ;   in Loop: Header=BB51_10 Depth=1
	global_load_dword v13, v[9:10], off
	v_mov_b32_e32 v16, 6
	s_waitcnt vmcnt(0)
	v_subrev_u32_e32 v14, s12, v13
	v_cmp_lt_i32_e64 s[0:1], -1, v14
	v_cmp_gt_i32_e64 s[2:3], s17, v14
	s_and_b64 s[0:1], s[0:1], s[2:3]
	v_cmp_gt_i32_e32 vcc, v0, v13
	s_xor_b64 s[0:1], s[0:1], -1
	s_or_b64 s[0:1], vcc, s[0:1]
	s_orn2_b64 s[42:43], s[0:1], exec
.LBB51_25:                              ;   in Loop: Header=BB51_10 Depth=1
	s_or_b64 exec, exec, s[44:45]
	s_mov_b64 s[2:3], -1
	s_and_saveexec_b64 s[0:1], s[42:43]
	s_cbranch_execz .LBB51_4
; %bb.26:                               ;   in Loop: Header=BB51_10 Depth=1
	v_add_co_u32_e32 v5, vcc, 0x80, v5
	v_addc_co_u32_e32 v6, vcc, 0, v6, vcc
	v_add_co_u32_e32 v7, vcc, 0x200, v7
	v_addc_co_u32_e32 v8, vcc, 0, v8, vcc
	;; [unrolled: 2-line block ×4, first 2 shown]
	v_cmp_ge_i64_e32 vcc, v[5:6], v[3:4]
	s_xor_b64 s[2:3], exec, -1
	s_orn2_b64 s[38:39], vcc, exec
	s_branch .LBB51_4
.LBB51_27:
	s_or_b64 exec, exec, s[8:9]
	s_and_b64 s[8:9], s[10:11], exec
.LBB51_28:
	s_or_b64 exec, exec, s[18:19]
	s_orn2_b64 s[10:11], s[8:9], exec
.LBB51_29:
	s_or_b64 exec, exec, s[6:7]
	s_and_b64 exec, exec, s[10:11]
	s_cbranch_execz .LBB51_31
; %bb.30:
	s_load_dwordx2 s[0:1], s[4:5], 0x40
	v_mov_b32_e32 v0, 0
	s_waitcnt lgkmcnt(0)
	global_store_dword v0, v16, s[0:1]
.LBB51_31:
	s_endpgm
	.section	.rodata,"a",@progbits
	.p2align	6, 0x0
	.amdhsa_kernel _ZN9rocsparseL23check_matrix_csr_deviceILj256ELj128E21rocsparse_complex_numIfEliEEvT3_S3_T2_PKT1_PKS4_PKS3_SB_21rocsparse_index_base_22rocsparse_matrix_type_20rocsparse_fill_mode_23rocsparse_storage_mode_P22rocsparse_data_status_
		.amdhsa_group_segment_fixed_size 0
		.amdhsa_private_segment_fixed_size 0
		.amdhsa_kernarg_size 72
		.amdhsa_user_sgpr_count 6
		.amdhsa_user_sgpr_private_segment_buffer 1
		.amdhsa_user_sgpr_dispatch_ptr 0
		.amdhsa_user_sgpr_queue_ptr 0
		.amdhsa_user_sgpr_kernarg_segment_ptr 1
		.amdhsa_user_sgpr_dispatch_id 0
		.amdhsa_user_sgpr_flat_scratch_init 0
		.amdhsa_user_sgpr_private_segment_size 0
		.amdhsa_uses_dynamic_stack 0
		.amdhsa_system_sgpr_private_segment_wavefront_offset 0
		.amdhsa_system_sgpr_workgroup_id_x 1
		.amdhsa_system_sgpr_workgroup_id_y 0
		.amdhsa_system_sgpr_workgroup_id_z 0
		.amdhsa_system_sgpr_workgroup_info 0
		.amdhsa_system_vgpr_workitem_id 0
		.amdhsa_next_free_vgpr 19
		.amdhsa_next_free_sgpr 46
		.amdhsa_reserve_vcc 1
		.amdhsa_reserve_flat_scratch 0
		.amdhsa_float_round_mode_32 0
		.amdhsa_float_round_mode_16_64 0
		.amdhsa_float_denorm_mode_32 3
		.amdhsa_float_denorm_mode_16_64 3
		.amdhsa_dx10_clamp 1
		.amdhsa_ieee_mode 1
		.amdhsa_fp16_overflow 0
		.amdhsa_exception_fp_ieee_invalid_op 0
		.amdhsa_exception_fp_denorm_src 0
		.amdhsa_exception_fp_ieee_div_zero 0
		.amdhsa_exception_fp_ieee_overflow 0
		.amdhsa_exception_fp_ieee_underflow 0
		.amdhsa_exception_fp_ieee_inexact 0
		.amdhsa_exception_int_div_zero 0
	.end_amdhsa_kernel
	.section	.text._ZN9rocsparseL23check_matrix_csr_deviceILj256ELj128E21rocsparse_complex_numIfEliEEvT3_S3_T2_PKT1_PKS4_PKS3_SB_21rocsparse_index_base_22rocsparse_matrix_type_20rocsparse_fill_mode_23rocsparse_storage_mode_P22rocsparse_data_status_,"axG",@progbits,_ZN9rocsparseL23check_matrix_csr_deviceILj256ELj128E21rocsparse_complex_numIfEliEEvT3_S3_T2_PKT1_PKS4_PKS3_SB_21rocsparse_index_base_22rocsparse_matrix_type_20rocsparse_fill_mode_23rocsparse_storage_mode_P22rocsparse_data_status_,comdat
.Lfunc_end51:
	.size	_ZN9rocsparseL23check_matrix_csr_deviceILj256ELj128E21rocsparse_complex_numIfEliEEvT3_S3_T2_PKT1_PKS4_PKS3_SB_21rocsparse_index_base_22rocsparse_matrix_type_20rocsparse_fill_mode_23rocsparse_storage_mode_P22rocsparse_data_status_, .Lfunc_end51-_ZN9rocsparseL23check_matrix_csr_deviceILj256ELj128E21rocsparse_complex_numIfEliEEvT3_S3_T2_PKT1_PKS4_PKS3_SB_21rocsparse_index_base_22rocsparse_matrix_type_20rocsparse_fill_mode_23rocsparse_storage_mode_P22rocsparse_data_status_
                                        ; -- End function
	.set _ZN9rocsparseL23check_matrix_csr_deviceILj256ELj128E21rocsparse_complex_numIfEliEEvT3_S3_T2_PKT1_PKS4_PKS3_SB_21rocsparse_index_base_22rocsparse_matrix_type_20rocsparse_fill_mode_23rocsparse_storage_mode_P22rocsparse_data_status_.num_vgpr, 19
	.set _ZN9rocsparseL23check_matrix_csr_deviceILj256ELj128E21rocsparse_complex_numIfEliEEvT3_S3_T2_PKT1_PKS4_PKS3_SB_21rocsparse_index_base_22rocsparse_matrix_type_20rocsparse_fill_mode_23rocsparse_storage_mode_P22rocsparse_data_status_.num_agpr, 0
	.set _ZN9rocsparseL23check_matrix_csr_deviceILj256ELj128E21rocsparse_complex_numIfEliEEvT3_S3_T2_PKT1_PKS4_PKS3_SB_21rocsparse_index_base_22rocsparse_matrix_type_20rocsparse_fill_mode_23rocsparse_storage_mode_P22rocsparse_data_status_.numbered_sgpr, 46
	.set _ZN9rocsparseL23check_matrix_csr_deviceILj256ELj128E21rocsparse_complex_numIfEliEEvT3_S3_T2_PKT1_PKS4_PKS3_SB_21rocsparse_index_base_22rocsparse_matrix_type_20rocsparse_fill_mode_23rocsparse_storage_mode_P22rocsparse_data_status_.num_named_barrier, 0
	.set _ZN9rocsparseL23check_matrix_csr_deviceILj256ELj128E21rocsparse_complex_numIfEliEEvT3_S3_T2_PKT1_PKS4_PKS3_SB_21rocsparse_index_base_22rocsparse_matrix_type_20rocsparse_fill_mode_23rocsparse_storage_mode_P22rocsparse_data_status_.private_seg_size, 0
	.set _ZN9rocsparseL23check_matrix_csr_deviceILj256ELj128E21rocsparse_complex_numIfEliEEvT3_S3_T2_PKT1_PKS4_PKS3_SB_21rocsparse_index_base_22rocsparse_matrix_type_20rocsparse_fill_mode_23rocsparse_storage_mode_P22rocsparse_data_status_.uses_vcc, 1
	.set _ZN9rocsparseL23check_matrix_csr_deviceILj256ELj128E21rocsparse_complex_numIfEliEEvT3_S3_T2_PKT1_PKS4_PKS3_SB_21rocsparse_index_base_22rocsparse_matrix_type_20rocsparse_fill_mode_23rocsparse_storage_mode_P22rocsparse_data_status_.uses_flat_scratch, 0
	.set _ZN9rocsparseL23check_matrix_csr_deviceILj256ELj128E21rocsparse_complex_numIfEliEEvT3_S3_T2_PKT1_PKS4_PKS3_SB_21rocsparse_index_base_22rocsparse_matrix_type_20rocsparse_fill_mode_23rocsparse_storage_mode_P22rocsparse_data_status_.has_dyn_sized_stack, 0
	.set _ZN9rocsparseL23check_matrix_csr_deviceILj256ELj128E21rocsparse_complex_numIfEliEEvT3_S3_T2_PKT1_PKS4_PKS3_SB_21rocsparse_index_base_22rocsparse_matrix_type_20rocsparse_fill_mode_23rocsparse_storage_mode_P22rocsparse_data_status_.has_recursion, 0
	.set _ZN9rocsparseL23check_matrix_csr_deviceILj256ELj128E21rocsparse_complex_numIfEliEEvT3_S3_T2_PKT1_PKS4_PKS3_SB_21rocsparse_index_base_22rocsparse_matrix_type_20rocsparse_fill_mode_23rocsparse_storage_mode_P22rocsparse_data_status_.has_indirect_call, 0
	.section	.AMDGPU.csdata,"",@progbits
; Kernel info:
; codeLenInByte = 948
; TotalNumSgprs: 50
; NumVgprs: 19
; ScratchSize: 0
; MemoryBound: 0
; FloatMode: 240
; IeeeMode: 1
; LDSByteSize: 0 bytes/workgroup (compile time only)
; SGPRBlocks: 6
; VGPRBlocks: 4
; NumSGPRsForWavesPerEU: 50
; NumVGPRsForWavesPerEU: 19
; Occupancy: 10
; WaveLimiterHint : 0
; COMPUTE_PGM_RSRC2:SCRATCH_EN: 0
; COMPUTE_PGM_RSRC2:USER_SGPR: 6
; COMPUTE_PGM_RSRC2:TRAP_HANDLER: 0
; COMPUTE_PGM_RSRC2:TGID_X_EN: 1
; COMPUTE_PGM_RSRC2:TGID_Y_EN: 0
; COMPUTE_PGM_RSRC2:TGID_Z_EN: 0
; COMPUTE_PGM_RSRC2:TIDIG_COMP_CNT: 0
	.section	.text._ZN9rocsparseL23check_matrix_csr_deviceILj256ELj256E21rocsparse_complex_numIfEliEEvT3_S3_T2_PKT1_PKS4_PKS3_SB_21rocsparse_index_base_22rocsparse_matrix_type_20rocsparse_fill_mode_23rocsparse_storage_mode_P22rocsparse_data_status_,"axG",@progbits,_ZN9rocsparseL23check_matrix_csr_deviceILj256ELj256E21rocsparse_complex_numIfEliEEvT3_S3_T2_PKT1_PKS4_PKS3_SB_21rocsparse_index_base_22rocsparse_matrix_type_20rocsparse_fill_mode_23rocsparse_storage_mode_P22rocsparse_data_status_,comdat
	.globl	_ZN9rocsparseL23check_matrix_csr_deviceILj256ELj256E21rocsparse_complex_numIfEliEEvT3_S3_T2_PKT1_PKS4_PKS3_SB_21rocsparse_index_base_22rocsparse_matrix_type_20rocsparse_fill_mode_23rocsparse_storage_mode_P22rocsparse_data_status_ ; -- Begin function _ZN9rocsparseL23check_matrix_csr_deviceILj256ELj256E21rocsparse_complex_numIfEliEEvT3_S3_T2_PKT1_PKS4_PKS3_SB_21rocsparse_index_base_22rocsparse_matrix_type_20rocsparse_fill_mode_23rocsparse_storage_mode_P22rocsparse_data_status_
	.p2align	8
	.type	_ZN9rocsparseL23check_matrix_csr_deviceILj256ELj256E21rocsparse_complex_numIfEliEEvT3_S3_T2_PKT1_PKS4_PKS3_SB_21rocsparse_index_base_22rocsparse_matrix_type_20rocsparse_fill_mode_23rocsparse_storage_mode_P22rocsparse_data_status_,@function
_ZN9rocsparseL23check_matrix_csr_deviceILj256ELj256E21rocsparse_complex_numIfEliEEvT3_S3_T2_PKT1_PKS4_PKS3_SB_21rocsparse_index_base_22rocsparse_matrix_type_20rocsparse_fill_mode_23rocsparse_storage_mode_P22rocsparse_data_status_: ; @_ZN9rocsparseL23check_matrix_csr_deviceILj256ELj256E21rocsparse_complex_numIfEliEEvT3_S3_T2_PKT1_PKS4_PKS3_SB_21rocsparse_index_base_22rocsparse_matrix_type_20rocsparse_fill_mode_23rocsparse_storage_mode_P22rocsparse_data_status_
; %bb.0:
	s_load_dwordx2 s[16:17], s[4:5], 0x0
	s_and_b32 s33, s6, 0xffffff
	s_waitcnt lgkmcnt(0)
	s_cmp_lt_i32 s33, s16
	s_cselect_b64 s[0:1], -1, 0
	s_and_saveexec_b64 s[2:3], s[0:1]
	s_cbranch_execz .LBB52_31
; %bb.1:
	s_load_dwordx2 s[0:1], s[4:5], 0x18
	v_lshlrev_b32_e64 v1, 3, s33
	v_mov_b32_e32 v15, 3
	s_mov_b64 s[10:11], -1
	s_mov_b64 s[8:9], 0
	s_waitcnt lgkmcnt(0)
	global_load_dwordx4 v[5:8], v1, s[0:1]
	s_load_dwordx2 s[0:1], s[0:1], 0x0
	s_waitcnt lgkmcnt(0)
	v_mov_b32_e32 v4, s1
	s_waitcnt vmcnt(0)
	v_subrev_co_u32_e32 v1, vcc, s0, v5
	v_subb_co_u32_e32 v2, vcc, v6, v4, vcc
	v_subrev_co_u32_e32 v3, vcc, s0, v7
	v_subb_co_u32_e32 v4, vcc, v8, v4, vcc
	v_cmp_gt_i64_e64 s[0:1], 0, v[3:4]
	v_cmp_lt_i64_e64 s[2:3], v[7:8], v[5:6]
	v_cmp_lt_i64_e32 vcc, -1, v[1:2]
	s_or_b64 s[0:1], s[0:1], s[2:3]
	s_xor_b64 s[0:1], s[0:1], -1
	s_and_b64 s[0:1], vcc, s[0:1]
	s_and_saveexec_b64 s[6:7], s[0:1]
	s_cbranch_execz .LBB52_29
; %bb.2:
	v_add_co_u32_e32 v5, vcc, v1, v0
	v_addc_co_u32_e32 v6, vcc, 0, v2, vcc
	v_cmp_lt_u64_e32 vcc, v[5:6], v[3:4]
	v_mov_b32_e32 v15, 3
	s_and_saveexec_b64 s[18:19], vcc
	s_cbranch_execz .LBB52_28
; %bb.3:
	s_load_dwordx8 s[8:15], s[4:5], 0x20
	s_load_dwordx2 s[0:1], s[4:5], 0x10
	v_lshlrev_b64 v[7:8], 2, v[5:6]
                                        ; implicit-def: $sgpr24_sgpr25
                                        ; implicit-def: $sgpr26_sgpr27
	v_add_co_u32_e32 v0, vcc, -4, v7
	v_addc_co_u32_e32 v10, vcc, -1, v8, vcc
	s_waitcnt lgkmcnt(0)
	v_mov_b32_e32 v8, s11
	v_add_co_u32_e32 v7, vcc, s10, v0
	v_addc_co_u32_e32 v8, vcc, v8, v10, vcc
	v_mov_b32_e32 v11, s9
	v_add_co_u32_e32 v9, vcc, s8, v0
	v_addc_co_u32_e32 v10, vcc, v11, v10, vcc
	v_lshlrev_b64 v[11:12], 3, v[5:6]
	s_cmp_lg_u32 s13, 0
	v_mov_b32_e32 v0, s1
	v_add_co_u32_e32 v11, vcc, s0, v11
	s_cselect_b64 s[20:21], -1, 0
	s_cmp_lg_u32 s14, 0
	v_addc_co_u32_e32 v0, vcc, v0, v12, vcc
	s_cselect_b64 s[22:23], -1, 0
	s_cmp_lg_u32 s15, 0
	v_add_co_u32_e32 v11, vcc, 4, v11
	s_cselect_b64 s[14:15], -1, 0
	v_addc_co_u32_e32 v12, vcc, 0, v0, vcc
	s_mov_b64 s[8:9], 0
	s_mov_b32 s13, 0x7f800000
                                        ; implicit-def: $sgpr10_sgpr11
	s_branch .LBB52_10
.LBB52_4:                               ;   in Loop: Header=BB52_10 Depth=1
	s_or_b64 exec, exec, s[0:1]
	s_orn2_b64 s[42:43], s[2:3], exec
	s_orn2_b64 s[0:1], s[38:39], exec
.LBB52_5:                               ;   in Loop: Header=BB52_10 Depth=1
	s_or_b64 exec, exec, s[40:41]
	s_orn2_b64 s[2:3], s[42:43], exec
	s_orn2_b64 s[0:1], s[0:1], exec
.LBB52_6:                               ;   in Loop: Header=BB52_10 Depth=1
	s_or_b64 exec, exec, s[36:37]
	s_orn2_b64 s[36:37], s[2:3], exec
	s_orn2_b64 s[2:3], s[0:1], exec
.LBB52_7:                               ;   in Loop: Header=BB52_10 Depth=1
	s_or_b64 exec, exec, s[34:35]
	s_orn2_b64 s[34:35], s[36:37], exec
	s_orn2_b64 s[0:1], s[2:3], exec
.LBB52_8:                               ;   in Loop: Header=BB52_10 Depth=1
	s_or_b64 exec, exec, s[30:31]
	s_andn2_b64 s[2:3], s[26:27], exec
	s_and_b64 s[26:27], s[34:35], exec
	s_or_b64 s[26:27], s[2:3], s[26:27]
	s_andn2_b64 s[2:3], s[24:25], exec
	s_and_b64 s[0:1], s[0:1], exec
	s_or_b64 s[24:25], s[2:3], s[0:1]
.LBB52_9:                               ;   in Loop: Header=BB52_10 Depth=1
	s_or_b64 exec, exec, s[28:29]
	s_and_b64 s[0:1], exec, s[24:25]
	s_or_b64 s[8:9], s[0:1], s[8:9]
	s_andn2_b64 s[0:1], s[10:11], exec
	s_and_b64 s[2:3], s[26:27], exec
	s_or_b64 s[10:11], s[0:1], s[2:3]
	s_andn2_b64 exec, exec, s[8:9]
	s_cbranch_execz .LBB52_27
.LBB52_10:                              ; =>This Inner Loop Header: Depth=1
	global_load_dword v0, v[9:10], off offset:4
	v_mov_b32_e32 v15, 4
	s_or_b64 s[26:27], s[26:27], exec
	s_or_b64 s[24:25], s[24:25], exec
	s_waitcnt vmcnt(0)
	v_subrev_u32_e32 v16, s12, v0
	v_cmp_lt_i32_e32 vcc, -1, v16
	v_cmp_gt_i32_e64 s[0:1], s17, v16
	s_and_b64 s[0:1], vcc, s[0:1]
	s_and_saveexec_b64 s[28:29], s[0:1]
	s_cbranch_execz .LBB52_9
; %bb.11:                               ;   in Loop: Header=BB52_10 Depth=1
	v_cmp_le_i64_e64 s[38:39], v[5:6], v[1:2]
	v_cmp_gt_i64_e32 vcc, v[5:6], v[1:2]
	v_mov_b32_e32 v15, 4
	s_mov_b64 s[2:3], s[38:39]
	s_and_saveexec_b64 s[30:31], vcc
	s_cbranch_execz .LBB52_13
; %bb.12:                               ;   in Loop: Header=BB52_10 Depth=1
	global_load_dwordx2 v[13:14], v[7:8], off
	v_mov_b32_e32 v15, 5
	s_waitcnt vmcnt(0)
	v_subrev_u32_e32 v17, s12, v13
	v_cmp_lt_i32_e64 s[0:1], -1, v17
	v_cmp_gt_i32_e64 s[2:3], s17, v17
	s_and_b64 s[0:1], s[0:1], s[2:3]
	v_cmp_ne_u32_e32 vcc, v14, v13
	s_xor_b64 s[0:1], s[0:1], -1
	s_or_b64 s[0:1], vcc, s[0:1]
	s_andn2_b64 s[2:3], s[38:39], exec
	s_and_b64 s[0:1], s[0:1], exec
	s_or_b64 s[2:3], s[2:3], s[0:1]
.LBB52_13:                              ;   in Loop: Header=BB52_10 Depth=1
	s_or_b64 exec, exec, s[30:31]
	s_mov_b64 s[0:1], -1
	s_mov_b64 s[34:35], -1
	s_and_saveexec_b64 s[30:31], s[2:3]
	s_cbranch_execz .LBB52_8
; %bb.14:                               ;   in Loop: Header=BB52_10 Depth=1
	global_load_dwordx2 v[13:14], v[11:12], off offset:-4
	v_mov_b32_e32 v15, 1
	s_mov_b64 s[2:3], -1
	s_mov_b64 s[36:37], -1
	s_waitcnt vmcnt(0)
	v_cmp_neq_f32_e32 vcc, s13, v13
	v_cmp_neq_f32_e64 s[0:1], s13, v14
	s_and_b64 s[0:1], vcc, s[0:1]
	s_and_saveexec_b64 s[34:35], s[0:1]
	s_cbranch_execz .LBB52_7
; %bb.15:                               ;   in Loop: Header=BB52_10 Depth=1
	v_cmp_o_f32_e32 vcc, v13, v14
	v_mov_b32_e32 v15, 2
	s_mov_b64 s[0:1], -1
	s_and_saveexec_b64 s[36:37], vcc
	s_cbranch_execz .LBB52_6
; %bb.16:                               ;   in Loop: Header=BB52_10 Depth=1
	s_and_b64 vcc, exec, s[20:21]
	s_cbranch_vccz .LBB52_19
; %bb.17:                               ;   in Loop: Header=BB52_10 Depth=1
	s_and_b64 vcc, exec, s[22:23]
	s_cbranch_vccz .LBB52_20
; %bb.18:                               ;   in Loop: Header=BB52_10 Depth=1
	v_cmp_le_i32_e32 vcc, s33, v16
	s_mov_b32 s16, 7
	s_and_b64 s[2:3], vcc, exec
	s_cbranch_execz .LBB52_21
	s_branch .LBB52_22
.LBB52_19:                              ;   in Loop: Header=BB52_10 Depth=1
	s_mov_b32 s16, 2
	s_branch .LBB52_22
.LBB52_20:                              ;   in Loop: Header=BB52_10 Depth=1
	s_mov_b64 s[2:3], 0
	s_mov_b32 s16, 2
.LBB52_21:                              ;   in Loop: Header=BB52_10 Depth=1
	v_cmp_ge_i32_e32 vcc, s33, v16
	s_andn2_b64 s[2:3], s[2:3], exec
	s_and_b64 s[40:41], vcc, exec
	s_mov_b32 s16, 7
	s_or_b64 s[2:3], s[2:3], s[40:41]
.LBB52_22:                              ;   in Loop: Header=BB52_10 Depth=1
	v_mov_b32_e32 v15, s16
	s_mov_b64 s[42:43], -1
	s_and_saveexec_b64 s[40:41], s[2:3]
	s_cbranch_execz .LBB52_5
; %bb.23:                               ;   in Loop: Header=BB52_10 Depth=1
	s_nor_b64 s[0:1], s[14:15], s[38:39]
	s_mov_b64 s[38:39], -1
	v_mov_b32_e32 v15, s16
	s_and_saveexec_b64 s[44:45], s[0:1]
	s_cbranch_execz .LBB52_25
; %bb.24:                               ;   in Loop: Header=BB52_10 Depth=1
	global_load_dword v13, v[9:10], off
	v_mov_b32_e32 v15, 6
	s_waitcnt vmcnt(0)
	v_subrev_u32_e32 v14, s12, v13
	v_cmp_lt_i32_e64 s[0:1], -1, v14
	v_cmp_gt_i32_e64 s[2:3], s17, v14
	s_and_b64 s[0:1], s[0:1], s[2:3]
	v_cmp_gt_i32_e32 vcc, v0, v13
	s_xor_b64 s[0:1], s[0:1], -1
	s_or_b64 s[0:1], vcc, s[0:1]
	s_orn2_b64 s[42:43], s[0:1], exec
.LBB52_25:                              ;   in Loop: Header=BB52_10 Depth=1
	s_or_b64 exec, exec, s[44:45]
	s_mov_b64 s[2:3], -1
	s_and_saveexec_b64 s[0:1], s[42:43]
	s_cbranch_execz .LBB52_4
; %bb.26:                               ;   in Loop: Header=BB52_10 Depth=1
	v_add_co_u32_e32 v5, vcc, 0x100, v5
	v_addc_co_u32_e32 v6, vcc, 0, v6, vcc
	v_add_co_u32_e32 v7, vcc, 0x400, v7
	v_addc_co_u32_e32 v8, vcc, 0, v8, vcc
	;; [unrolled: 2-line block ×4, first 2 shown]
	v_cmp_ge_i64_e32 vcc, v[5:6], v[3:4]
	s_xor_b64 s[2:3], exec, -1
	s_orn2_b64 s[38:39], vcc, exec
	s_branch .LBB52_4
.LBB52_27:
	s_or_b64 exec, exec, s[8:9]
	s_and_b64 s[8:9], s[10:11], exec
.LBB52_28:
	s_or_b64 exec, exec, s[18:19]
	s_orn2_b64 s[10:11], s[8:9], exec
.LBB52_29:
	s_or_b64 exec, exec, s[6:7]
	s_and_b64 exec, exec, s[10:11]
	s_cbranch_execz .LBB52_31
; %bb.30:
	s_load_dwordx2 s[0:1], s[4:5], 0x40
	v_mov_b32_e32 v0, 0
	s_waitcnt lgkmcnt(0)
	global_store_dword v0, v15, s[0:1]
.LBB52_31:
	s_endpgm
	.section	.rodata,"a",@progbits
	.p2align	6, 0x0
	.amdhsa_kernel _ZN9rocsparseL23check_matrix_csr_deviceILj256ELj256E21rocsparse_complex_numIfEliEEvT3_S3_T2_PKT1_PKS4_PKS3_SB_21rocsparse_index_base_22rocsparse_matrix_type_20rocsparse_fill_mode_23rocsparse_storage_mode_P22rocsparse_data_status_
		.amdhsa_group_segment_fixed_size 0
		.amdhsa_private_segment_fixed_size 0
		.amdhsa_kernarg_size 72
		.amdhsa_user_sgpr_count 6
		.amdhsa_user_sgpr_private_segment_buffer 1
		.amdhsa_user_sgpr_dispatch_ptr 0
		.amdhsa_user_sgpr_queue_ptr 0
		.amdhsa_user_sgpr_kernarg_segment_ptr 1
		.amdhsa_user_sgpr_dispatch_id 0
		.amdhsa_user_sgpr_flat_scratch_init 0
		.amdhsa_user_sgpr_private_segment_size 0
		.amdhsa_uses_dynamic_stack 0
		.amdhsa_system_sgpr_private_segment_wavefront_offset 0
		.amdhsa_system_sgpr_workgroup_id_x 1
		.amdhsa_system_sgpr_workgroup_id_y 0
		.amdhsa_system_sgpr_workgroup_id_z 0
		.amdhsa_system_sgpr_workgroup_info 0
		.amdhsa_system_vgpr_workitem_id 0
		.amdhsa_next_free_vgpr 18
		.amdhsa_next_free_sgpr 46
		.amdhsa_reserve_vcc 1
		.amdhsa_reserve_flat_scratch 0
		.amdhsa_float_round_mode_32 0
		.amdhsa_float_round_mode_16_64 0
		.amdhsa_float_denorm_mode_32 3
		.amdhsa_float_denorm_mode_16_64 3
		.amdhsa_dx10_clamp 1
		.amdhsa_ieee_mode 1
		.amdhsa_fp16_overflow 0
		.amdhsa_exception_fp_ieee_invalid_op 0
		.amdhsa_exception_fp_denorm_src 0
		.amdhsa_exception_fp_ieee_div_zero 0
		.amdhsa_exception_fp_ieee_overflow 0
		.amdhsa_exception_fp_ieee_underflow 0
		.amdhsa_exception_fp_ieee_inexact 0
		.amdhsa_exception_int_div_zero 0
	.end_amdhsa_kernel
	.section	.text._ZN9rocsparseL23check_matrix_csr_deviceILj256ELj256E21rocsparse_complex_numIfEliEEvT3_S3_T2_PKT1_PKS4_PKS3_SB_21rocsparse_index_base_22rocsparse_matrix_type_20rocsparse_fill_mode_23rocsparse_storage_mode_P22rocsparse_data_status_,"axG",@progbits,_ZN9rocsparseL23check_matrix_csr_deviceILj256ELj256E21rocsparse_complex_numIfEliEEvT3_S3_T2_PKT1_PKS4_PKS3_SB_21rocsparse_index_base_22rocsparse_matrix_type_20rocsparse_fill_mode_23rocsparse_storage_mode_P22rocsparse_data_status_,comdat
.Lfunc_end52:
	.size	_ZN9rocsparseL23check_matrix_csr_deviceILj256ELj256E21rocsparse_complex_numIfEliEEvT3_S3_T2_PKT1_PKS4_PKS3_SB_21rocsparse_index_base_22rocsparse_matrix_type_20rocsparse_fill_mode_23rocsparse_storage_mode_P22rocsparse_data_status_, .Lfunc_end52-_ZN9rocsparseL23check_matrix_csr_deviceILj256ELj256E21rocsparse_complex_numIfEliEEvT3_S3_T2_PKT1_PKS4_PKS3_SB_21rocsparse_index_base_22rocsparse_matrix_type_20rocsparse_fill_mode_23rocsparse_storage_mode_P22rocsparse_data_status_
                                        ; -- End function
	.set _ZN9rocsparseL23check_matrix_csr_deviceILj256ELj256E21rocsparse_complex_numIfEliEEvT3_S3_T2_PKT1_PKS4_PKS3_SB_21rocsparse_index_base_22rocsparse_matrix_type_20rocsparse_fill_mode_23rocsparse_storage_mode_P22rocsparse_data_status_.num_vgpr, 18
	.set _ZN9rocsparseL23check_matrix_csr_deviceILj256ELj256E21rocsparse_complex_numIfEliEEvT3_S3_T2_PKT1_PKS4_PKS3_SB_21rocsparse_index_base_22rocsparse_matrix_type_20rocsparse_fill_mode_23rocsparse_storage_mode_P22rocsparse_data_status_.num_agpr, 0
	.set _ZN9rocsparseL23check_matrix_csr_deviceILj256ELj256E21rocsparse_complex_numIfEliEEvT3_S3_T2_PKT1_PKS4_PKS3_SB_21rocsparse_index_base_22rocsparse_matrix_type_20rocsparse_fill_mode_23rocsparse_storage_mode_P22rocsparse_data_status_.numbered_sgpr, 46
	.set _ZN9rocsparseL23check_matrix_csr_deviceILj256ELj256E21rocsparse_complex_numIfEliEEvT3_S3_T2_PKT1_PKS4_PKS3_SB_21rocsparse_index_base_22rocsparse_matrix_type_20rocsparse_fill_mode_23rocsparse_storage_mode_P22rocsparse_data_status_.num_named_barrier, 0
	.set _ZN9rocsparseL23check_matrix_csr_deviceILj256ELj256E21rocsparse_complex_numIfEliEEvT3_S3_T2_PKT1_PKS4_PKS3_SB_21rocsparse_index_base_22rocsparse_matrix_type_20rocsparse_fill_mode_23rocsparse_storage_mode_P22rocsparse_data_status_.private_seg_size, 0
	.set _ZN9rocsparseL23check_matrix_csr_deviceILj256ELj256E21rocsparse_complex_numIfEliEEvT3_S3_T2_PKT1_PKS4_PKS3_SB_21rocsparse_index_base_22rocsparse_matrix_type_20rocsparse_fill_mode_23rocsparse_storage_mode_P22rocsparse_data_status_.uses_vcc, 1
	.set _ZN9rocsparseL23check_matrix_csr_deviceILj256ELj256E21rocsparse_complex_numIfEliEEvT3_S3_T2_PKT1_PKS4_PKS3_SB_21rocsparse_index_base_22rocsparse_matrix_type_20rocsparse_fill_mode_23rocsparse_storage_mode_P22rocsparse_data_status_.uses_flat_scratch, 0
	.set _ZN9rocsparseL23check_matrix_csr_deviceILj256ELj256E21rocsparse_complex_numIfEliEEvT3_S3_T2_PKT1_PKS4_PKS3_SB_21rocsparse_index_base_22rocsparse_matrix_type_20rocsparse_fill_mode_23rocsparse_storage_mode_P22rocsparse_data_status_.has_dyn_sized_stack, 0
	.set _ZN9rocsparseL23check_matrix_csr_deviceILj256ELj256E21rocsparse_complex_numIfEliEEvT3_S3_T2_PKT1_PKS4_PKS3_SB_21rocsparse_index_base_22rocsparse_matrix_type_20rocsparse_fill_mode_23rocsparse_storage_mode_P22rocsparse_data_status_.has_recursion, 0
	.set _ZN9rocsparseL23check_matrix_csr_deviceILj256ELj256E21rocsparse_complex_numIfEliEEvT3_S3_T2_PKT1_PKS4_PKS3_SB_21rocsparse_index_base_22rocsparse_matrix_type_20rocsparse_fill_mode_23rocsparse_storage_mode_P22rocsparse_data_status_.has_indirect_call, 0
	.section	.AMDGPU.csdata,"",@progbits
; Kernel info:
; codeLenInByte = 944
; TotalNumSgprs: 50
; NumVgprs: 18
; ScratchSize: 0
; MemoryBound: 0
; FloatMode: 240
; IeeeMode: 1
; LDSByteSize: 0 bytes/workgroup (compile time only)
; SGPRBlocks: 6
; VGPRBlocks: 4
; NumSGPRsForWavesPerEU: 50
; NumVGPRsForWavesPerEU: 18
; Occupancy: 10
; WaveLimiterHint : 0
; COMPUTE_PGM_RSRC2:SCRATCH_EN: 0
; COMPUTE_PGM_RSRC2:USER_SGPR: 6
; COMPUTE_PGM_RSRC2:TRAP_HANDLER: 0
; COMPUTE_PGM_RSRC2:TGID_X_EN: 1
; COMPUTE_PGM_RSRC2:TGID_Y_EN: 0
; COMPUTE_PGM_RSRC2:TGID_Z_EN: 0
; COMPUTE_PGM_RSRC2:TIDIG_COMP_CNT: 0
	.section	.text._ZN9rocsparseL23check_matrix_csr_deviceILj256ELj4E21rocsparse_complex_numIdEliEEvT3_S3_T2_PKT1_PKS4_PKS3_SB_21rocsparse_index_base_22rocsparse_matrix_type_20rocsparse_fill_mode_23rocsparse_storage_mode_P22rocsparse_data_status_,"axG",@progbits,_ZN9rocsparseL23check_matrix_csr_deviceILj256ELj4E21rocsparse_complex_numIdEliEEvT3_S3_T2_PKT1_PKS4_PKS3_SB_21rocsparse_index_base_22rocsparse_matrix_type_20rocsparse_fill_mode_23rocsparse_storage_mode_P22rocsparse_data_status_,comdat
	.globl	_ZN9rocsparseL23check_matrix_csr_deviceILj256ELj4E21rocsparse_complex_numIdEliEEvT3_S3_T2_PKT1_PKS4_PKS3_SB_21rocsparse_index_base_22rocsparse_matrix_type_20rocsparse_fill_mode_23rocsparse_storage_mode_P22rocsparse_data_status_ ; -- Begin function _ZN9rocsparseL23check_matrix_csr_deviceILj256ELj4E21rocsparse_complex_numIdEliEEvT3_S3_T2_PKT1_PKS4_PKS3_SB_21rocsparse_index_base_22rocsparse_matrix_type_20rocsparse_fill_mode_23rocsparse_storage_mode_P22rocsparse_data_status_
	.p2align	8
	.type	_ZN9rocsparseL23check_matrix_csr_deviceILj256ELj4E21rocsparse_complex_numIdEliEEvT3_S3_T2_PKT1_PKS4_PKS3_SB_21rocsparse_index_base_22rocsparse_matrix_type_20rocsparse_fill_mode_23rocsparse_storage_mode_P22rocsparse_data_status_,@function
_ZN9rocsparseL23check_matrix_csr_deviceILj256ELj4E21rocsparse_complex_numIdEliEEvT3_S3_T2_PKT1_PKS4_PKS3_SB_21rocsparse_index_base_22rocsparse_matrix_type_20rocsparse_fill_mode_23rocsparse_storage_mode_P22rocsparse_data_status_: ; @_ZN9rocsparseL23check_matrix_csr_deviceILj256ELj4E21rocsparse_complex_numIdEliEEvT3_S3_T2_PKT1_PKS4_PKS3_SB_21rocsparse_index_base_22rocsparse_matrix_type_20rocsparse_fill_mode_23rocsparse_storage_mode_P22rocsparse_data_status_
; %bb.0:
	s_load_dwordx2 s[16:17], s[4:5], 0x0
	v_lshl_or_b32 v1, s6, 8, v0
	v_lshrrev_b32_e32 v4, 2, v1
	s_waitcnt lgkmcnt(0)
	v_cmp_gt_i32_e32 vcc, s16, v4
	s_and_saveexec_b64 s[0:1], vcc
	s_cbranch_execz .LBB53_31
; %bb.1:
	s_load_dwordx2 s[0:1], s[4:5], 0x18
	v_mov_b32_e32 v5, 0
	v_lshlrev_b64 v[1:2], 3, v[4:5]
	v_mov_b32_e32 v17, 3
	s_mov_b64 s[10:11], -1
	s_waitcnt lgkmcnt(0)
	v_mov_b32_e32 v3, s1
	v_add_co_u32_e32 v1, vcc, s0, v1
	v_addc_co_u32_e32 v2, vcc, v3, v2, vcc
	global_load_dwordx4 v[9:12], v[1:2], off
	s_load_dwordx2 s[0:1], s[0:1], 0x0
	s_mov_b64 s[8:9], 0
	s_waitcnt lgkmcnt(0)
	v_mov_b32_e32 v1, s1
	s_waitcnt vmcnt(0)
	v_subrev_co_u32_e32 v5, vcc, s0, v9
	v_subb_co_u32_e32 v6, vcc, v10, v1, vcc
	v_subrev_co_u32_e32 v7, vcc, s0, v11
	v_subb_co_u32_e32 v8, vcc, v12, v1, vcc
	v_cmp_gt_i64_e64 s[0:1], 0, v[7:8]
	v_cmp_lt_i64_e64 s[2:3], v[11:12], v[9:10]
	v_cmp_lt_i64_e32 vcc, -1, v[5:6]
	s_or_b64 s[0:1], s[0:1], s[2:3]
	s_xor_b64 s[0:1], s[0:1], -1
	s_and_b64 s[0:1], vcc, s[0:1]
	s_and_saveexec_b64 s[6:7], s[0:1]
	s_cbranch_execz .LBB53_29
; %bb.2:
	v_and_b32_e32 v0, 3, v0
	v_add_co_u32_e32 v9, vcc, v5, v0
	v_addc_co_u32_e32 v10, vcc, 0, v6, vcc
	v_cmp_lt_u64_e32 vcc, v[9:10], v[7:8]
	v_mov_b32_e32 v17, 3
	s_and_saveexec_b64 s[18:19], vcc
	s_cbranch_execz .LBB53_28
; %bb.3:
	s_load_dwordx8 s[8:15], s[4:5], 0x20
	s_load_dwordx2 s[0:1], s[4:5], 0x10
	v_lshlrev_b64 v[0:1], 2, v[9:10]
                                        ; implicit-def: $sgpr24_sgpr25
                                        ; implicit-def: $sgpr26_sgpr27
                                        ; implicit-def: $sgpr28_sgpr29
	v_add_co_u32_e32 v0, vcc, -4, v0
	v_addc_co_u32_e32 v1, vcc, -1, v1, vcc
	s_waitcnt lgkmcnt(0)
	v_mov_b32_e32 v2, s11
	v_add_co_u32_e32 v11, vcc, s10, v0
	v_addc_co_u32_e32 v12, vcc, v2, v1, vcc
	v_mov_b32_e32 v2, s9
	v_add_co_u32_e32 v13, vcc, s8, v0
	v_addc_co_u32_e32 v14, vcc, v2, v1, vcc
	v_lshlrev_b64 v[0:1], 4, v[9:10]
	s_cmp_lg_u32 s13, 0
	v_mov_b32_e32 v2, s1
	v_add_co_u32_e32 v0, vcc, s0, v0
	s_cselect_b64 s[20:21], -1, 0
	s_cmp_lg_u32 s14, 0
	v_addc_co_u32_e32 v1, vcc, v2, v1, vcc
	s_cselect_b64 s[22:23], -1, 0
	s_cmp_lg_u32 s15, 0
	v_add_co_u32_e32 v15, vcc, 8, v0
	s_mov_b32 s10, 0
	s_cselect_b64 s[14:15], -1, 0
	v_addc_co_u32_e32 v16, vcc, 0, v1, vcc
	s_mov_b32 s11, 0x7ff00000
	s_mov_b64 s[8:9], 0
	s_branch .LBB53_10
.LBB53_4:                               ;   in Loop: Header=BB53_10 Depth=1
	s_or_b64 exec, exec, s[0:1]
	s_orn2_b64 s[44:45], s[2:3], exec
	s_orn2_b64 s[0:1], s[40:41], exec
.LBB53_5:                               ;   in Loop: Header=BB53_10 Depth=1
	s_or_b64 exec, exec, s[42:43]
	s_orn2_b64 s[2:3], s[44:45], exec
	s_orn2_b64 s[0:1], s[0:1], exec
.LBB53_6:                               ;   in Loop: Header=BB53_10 Depth=1
	s_or_b64 exec, exec, s[38:39]
	s_orn2_b64 s[38:39], s[2:3], exec
	s_orn2_b64 s[2:3], s[0:1], exec
.LBB53_7:                               ;   in Loop: Header=BB53_10 Depth=1
	s_or_b64 exec, exec, s[36:37]
	s_orn2_b64 s[36:37], s[38:39], exec
	s_orn2_b64 s[0:1], s[2:3], exec
.LBB53_8:                               ;   in Loop: Header=BB53_10 Depth=1
	s_or_b64 exec, exec, s[34:35]
	s_andn2_b64 s[2:3], s[28:29], exec
	s_and_b64 s[28:29], s[36:37], exec
	s_or_b64 s[28:29], s[2:3], s[28:29]
	s_andn2_b64 s[2:3], s[26:27], exec
	s_and_b64 s[0:1], s[0:1], exec
	s_or_b64 s[26:27], s[2:3], s[0:1]
.LBB53_9:                               ;   in Loop: Header=BB53_10 Depth=1
	s_or_b64 exec, exec, s[30:31]
	s_and_b64 s[0:1], exec, s[26:27]
	s_or_b64 s[8:9], s[0:1], s[8:9]
	s_andn2_b64 s[0:1], s[24:25], exec
	s_and_b64 s[2:3], s[28:29], exec
	s_or_b64 s[24:25], s[0:1], s[2:3]
	s_andn2_b64 exec, exec, s[8:9]
	s_cbranch_execz .LBB53_27
.LBB53_10:                              ; =>This Inner Loop Header: Depth=1
	global_load_dword v18, v[13:14], off offset:4
	v_mov_b32_e32 v17, 4
	s_or_b64 s[28:29], s[28:29], exec
	s_or_b64 s[26:27], s[26:27], exec
	s_waitcnt vmcnt(0)
	v_subrev_u32_e32 v19, s12, v18
	v_cmp_lt_i32_e32 vcc, -1, v19
	v_cmp_gt_i32_e64 s[0:1], s17, v19
	s_and_b64 s[0:1], vcc, s[0:1]
	s_and_saveexec_b64 s[30:31], s[0:1]
	s_cbranch_execz .LBB53_9
; %bb.11:                               ;   in Loop: Header=BB53_10 Depth=1
	v_cmp_le_i64_e64 s[40:41], v[9:10], v[5:6]
	v_cmp_gt_i64_e32 vcc, v[9:10], v[5:6]
	v_mov_b32_e32 v17, 4
	s_mov_b64 s[2:3], s[40:41]
	s_and_saveexec_b64 s[34:35], vcc
	s_cbranch_execz .LBB53_13
; %bb.12:                               ;   in Loop: Header=BB53_10 Depth=1
	global_load_dwordx2 v[0:1], v[11:12], off
	v_mov_b32_e32 v17, 5
	s_waitcnt vmcnt(0)
	v_subrev_u32_e32 v2, s12, v0
	v_cmp_lt_i32_e64 s[0:1], -1, v2
	v_cmp_gt_i32_e64 s[2:3], s17, v2
	s_and_b64 s[0:1], s[0:1], s[2:3]
	v_cmp_ne_u32_e32 vcc, v1, v0
	s_xor_b64 s[0:1], s[0:1], -1
	s_or_b64 s[0:1], vcc, s[0:1]
	s_andn2_b64 s[2:3], s[40:41], exec
	s_and_b64 s[0:1], s[0:1], exec
	s_or_b64 s[2:3], s[2:3], s[0:1]
.LBB53_13:                              ;   in Loop: Header=BB53_10 Depth=1
	s_or_b64 exec, exec, s[34:35]
	s_mov_b64 s[0:1], -1
	s_mov_b64 s[36:37], -1
	s_and_saveexec_b64 s[34:35], s[2:3]
	s_cbranch_execz .LBB53_8
; %bb.14:                               ;   in Loop: Header=BB53_10 Depth=1
	global_load_dwordx4 v[0:3], v[15:16], off offset:-8
	v_mov_b32_e32 v17, 1
	s_mov_b64 s[2:3], -1
	s_mov_b64 s[38:39], -1
	s_waitcnt vmcnt(0)
	v_cmp_neq_f64_e32 vcc, s[10:11], v[0:1]
	v_cmp_neq_f64_e64 s[0:1], s[10:11], v[2:3]
	s_and_b64 s[0:1], vcc, s[0:1]
	s_and_saveexec_b64 s[36:37], s[0:1]
	s_cbranch_execz .LBB53_7
; %bb.15:                               ;   in Loop: Header=BB53_10 Depth=1
	v_cmp_o_f64_e32 vcc, v[0:1], v[2:3]
	v_mov_b32_e32 v17, 2
	s_mov_b64 s[0:1], -1
	s_and_saveexec_b64 s[38:39], vcc
	s_cbranch_execz .LBB53_6
; %bb.16:                               ;   in Loop: Header=BB53_10 Depth=1
	s_and_b64 vcc, exec, s[20:21]
	s_cbranch_vccz .LBB53_19
; %bb.17:                               ;   in Loop: Header=BB53_10 Depth=1
	s_and_b64 vcc, exec, s[22:23]
	s_cbranch_vccz .LBB53_20
; %bb.18:                               ;   in Loop: Header=BB53_10 Depth=1
	v_cmp_le_i32_e32 vcc, v4, v19
	s_mov_b32 s13, 7
	s_and_b64 s[2:3], vcc, exec
	s_cbranch_execz .LBB53_21
	s_branch .LBB53_22
.LBB53_19:                              ;   in Loop: Header=BB53_10 Depth=1
	s_mov_b32 s13, 2
	s_branch .LBB53_22
.LBB53_20:                              ;   in Loop: Header=BB53_10 Depth=1
	s_mov_b64 s[2:3], 0
	s_mov_b32 s13, 2
.LBB53_21:                              ;   in Loop: Header=BB53_10 Depth=1
	v_cmp_ge_i32_e32 vcc, v4, v19
	s_andn2_b64 s[2:3], s[2:3], exec
	s_and_b64 s[42:43], vcc, exec
	s_mov_b32 s13, 7
	s_or_b64 s[2:3], s[2:3], s[42:43]
.LBB53_22:                              ;   in Loop: Header=BB53_10 Depth=1
	v_mov_b32_e32 v17, s13
	s_mov_b64 s[44:45], -1
	s_and_saveexec_b64 s[42:43], s[2:3]
	s_cbranch_execz .LBB53_5
; %bb.23:                               ;   in Loop: Header=BB53_10 Depth=1
	s_nor_b64 s[0:1], s[14:15], s[40:41]
	s_mov_b64 s[40:41], -1
	v_mov_b32_e32 v17, s13
	s_and_saveexec_b64 s[46:47], s[0:1]
	s_cbranch_execz .LBB53_25
; %bb.24:                               ;   in Loop: Header=BB53_10 Depth=1
	global_load_dword v0, v[13:14], off
	v_mov_b32_e32 v17, 6
	s_waitcnt vmcnt(0)
	v_subrev_u32_e32 v1, s12, v0
	v_cmp_lt_i32_e64 s[0:1], -1, v1
	v_cmp_gt_i32_e64 s[2:3], s17, v1
	s_and_b64 s[0:1], s[0:1], s[2:3]
	v_cmp_gt_i32_e32 vcc, v18, v0
	s_xor_b64 s[0:1], s[0:1], -1
	s_or_b64 s[0:1], vcc, s[0:1]
	s_orn2_b64 s[44:45], s[0:1], exec
.LBB53_25:                              ;   in Loop: Header=BB53_10 Depth=1
	s_or_b64 exec, exec, s[46:47]
	s_mov_b64 s[2:3], -1
	s_and_saveexec_b64 s[0:1], s[44:45]
	s_cbranch_execz .LBB53_4
; %bb.26:                               ;   in Loop: Header=BB53_10 Depth=1
	v_add_co_u32_e32 v9, vcc, 4, v9
	v_addc_co_u32_e32 v10, vcc, 0, v10, vcc
	v_add_co_u32_e32 v11, vcc, 16, v11
	v_addc_co_u32_e32 v12, vcc, 0, v12, vcc
	;; [unrolled: 2-line block ×4, first 2 shown]
	v_cmp_ge_i64_e32 vcc, v[9:10], v[7:8]
	s_xor_b64 s[2:3], exec, -1
	s_orn2_b64 s[40:41], vcc, exec
	s_branch .LBB53_4
.LBB53_27:
	s_or_b64 exec, exec, s[8:9]
	s_and_b64 s[8:9], s[24:25], exec
.LBB53_28:
	s_or_b64 exec, exec, s[18:19]
	s_orn2_b64 s[10:11], s[8:9], exec
.LBB53_29:
	s_or_b64 exec, exec, s[6:7]
	s_and_b64 exec, exec, s[10:11]
	s_cbranch_execz .LBB53_31
; %bb.30:
	s_load_dwordx2 s[0:1], s[4:5], 0x40
	v_mov_b32_e32 v0, 0
	s_waitcnt lgkmcnt(0)
	global_store_dword v0, v17, s[0:1]
.LBB53_31:
	s_endpgm
	.section	.rodata,"a",@progbits
	.p2align	6, 0x0
	.amdhsa_kernel _ZN9rocsparseL23check_matrix_csr_deviceILj256ELj4E21rocsparse_complex_numIdEliEEvT3_S3_T2_PKT1_PKS4_PKS3_SB_21rocsparse_index_base_22rocsparse_matrix_type_20rocsparse_fill_mode_23rocsparse_storage_mode_P22rocsparse_data_status_
		.amdhsa_group_segment_fixed_size 0
		.amdhsa_private_segment_fixed_size 0
		.amdhsa_kernarg_size 72
		.amdhsa_user_sgpr_count 6
		.amdhsa_user_sgpr_private_segment_buffer 1
		.amdhsa_user_sgpr_dispatch_ptr 0
		.amdhsa_user_sgpr_queue_ptr 0
		.amdhsa_user_sgpr_kernarg_segment_ptr 1
		.amdhsa_user_sgpr_dispatch_id 0
		.amdhsa_user_sgpr_flat_scratch_init 0
		.amdhsa_user_sgpr_private_segment_size 0
		.amdhsa_uses_dynamic_stack 0
		.amdhsa_system_sgpr_private_segment_wavefront_offset 0
		.amdhsa_system_sgpr_workgroup_id_x 1
		.amdhsa_system_sgpr_workgroup_id_y 0
		.amdhsa_system_sgpr_workgroup_id_z 0
		.amdhsa_system_sgpr_workgroup_info 0
		.amdhsa_system_vgpr_workitem_id 0
		.amdhsa_next_free_vgpr 20
		.amdhsa_next_free_sgpr 48
		.amdhsa_reserve_vcc 1
		.amdhsa_reserve_flat_scratch 0
		.amdhsa_float_round_mode_32 0
		.amdhsa_float_round_mode_16_64 0
		.amdhsa_float_denorm_mode_32 3
		.amdhsa_float_denorm_mode_16_64 3
		.amdhsa_dx10_clamp 1
		.amdhsa_ieee_mode 1
		.amdhsa_fp16_overflow 0
		.amdhsa_exception_fp_ieee_invalid_op 0
		.amdhsa_exception_fp_denorm_src 0
		.amdhsa_exception_fp_ieee_div_zero 0
		.amdhsa_exception_fp_ieee_overflow 0
		.amdhsa_exception_fp_ieee_underflow 0
		.amdhsa_exception_fp_ieee_inexact 0
		.amdhsa_exception_int_div_zero 0
	.end_amdhsa_kernel
	.section	.text._ZN9rocsparseL23check_matrix_csr_deviceILj256ELj4E21rocsparse_complex_numIdEliEEvT3_S3_T2_PKT1_PKS4_PKS3_SB_21rocsparse_index_base_22rocsparse_matrix_type_20rocsparse_fill_mode_23rocsparse_storage_mode_P22rocsparse_data_status_,"axG",@progbits,_ZN9rocsparseL23check_matrix_csr_deviceILj256ELj4E21rocsparse_complex_numIdEliEEvT3_S3_T2_PKT1_PKS4_PKS3_SB_21rocsparse_index_base_22rocsparse_matrix_type_20rocsparse_fill_mode_23rocsparse_storage_mode_P22rocsparse_data_status_,comdat
.Lfunc_end53:
	.size	_ZN9rocsparseL23check_matrix_csr_deviceILj256ELj4E21rocsparse_complex_numIdEliEEvT3_S3_T2_PKT1_PKS4_PKS3_SB_21rocsparse_index_base_22rocsparse_matrix_type_20rocsparse_fill_mode_23rocsparse_storage_mode_P22rocsparse_data_status_, .Lfunc_end53-_ZN9rocsparseL23check_matrix_csr_deviceILj256ELj4E21rocsparse_complex_numIdEliEEvT3_S3_T2_PKT1_PKS4_PKS3_SB_21rocsparse_index_base_22rocsparse_matrix_type_20rocsparse_fill_mode_23rocsparse_storage_mode_P22rocsparse_data_status_
                                        ; -- End function
	.set _ZN9rocsparseL23check_matrix_csr_deviceILj256ELj4E21rocsparse_complex_numIdEliEEvT3_S3_T2_PKT1_PKS4_PKS3_SB_21rocsparse_index_base_22rocsparse_matrix_type_20rocsparse_fill_mode_23rocsparse_storage_mode_P22rocsparse_data_status_.num_vgpr, 20
	.set _ZN9rocsparseL23check_matrix_csr_deviceILj256ELj4E21rocsparse_complex_numIdEliEEvT3_S3_T2_PKT1_PKS4_PKS3_SB_21rocsparse_index_base_22rocsparse_matrix_type_20rocsparse_fill_mode_23rocsparse_storage_mode_P22rocsparse_data_status_.num_agpr, 0
	.set _ZN9rocsparseL23check_matrix_csr_deviceILj256ELj4E21rocsparse_complex_numIdEliEEvT3_S3_T2_PKT1_PKS4_PKS3_SB_21rocsparse_index_base_22rocsparse_matrix_type_20rocsparse_fill_mode_23rocsparse_storage_mode_P22rocsparse_data_status_.numbered_sgpr, 48
	.set _ZN9rocsparseL23check_matrix_csr_deviceILj256ELj4E21rocsparse_complex_numIdEliEEvT3_S3_T2_PKT1_PKS4_PKS3_SB_21rocsparse_index_base_22rocsparse_matrix_type_20rocsparse_fill_mode_23rocsparse_storage_mode_P22rocsparse_data_status_.num_named_barrier, 0
	.set _ZN9rocsparseL23check_matrix_csr_deviceILj256ELj4E21rocsparse_complex_numIdEliEEvT3_S3_T2_PKT1_PKS4_PKS3_SB_21rocsparse_index_base_22rocsparse_matrix_type_20rocsparse_fill_mode_23rocsparse_storage_mode_P22rocsparse_data_status_.private_seg_size, 0
	.set _ZN9rocsparseL23check_matrix_csr_deviceILj256ELj4E21rocsparse_complex_numIdEliEEvT3_S3_T2_PKT1_PKS4_PKS3_SB_21rocsparse_index_base_22rocsparse_matrix_type_20rocsparse_fill_mode_23rocsparse_storage_mode_P22rocsparse_data_status_.uses_vcc, 1
	.set _ZN9rocsparseL23check_matrix_csr_deviceILj256ELj4E21rocsparse_complex_numIdEliEEvT3_S3_T2_PKT1_PKS4_PKS3_SB_21rocsparse_index_base_22rocsparse_matrix_type_20rocsparse_fill_mode_23rocsparse_storage_mode_P22rocsparse_data_status_.uses_flat_scratch, 0
	.set _ZN9rocsparseL23check_matrix_csr_deviceILj256ELj4E21rocsparse_complex_numIdEliEEvT3_S3_T2_PKT1_PKS4_PKS3_SB_21rocsparse_index_base_22rocsparse_matrix_type_20rocsparse_fill_mode_23rocsparse_storage_mode_P22rocsparse_data_status_.has_dyn_sized_stack, 0
	.set _ZN9rocsparseL23check_matrix_csr_deviceILj256ELj4E21rocsparse_complex_numIdEliEEvT3_S3_T2_PKT1_PKS4_PKS3_SB_21rocsparse_index_base_22rocsparse_matrix_type_20rocsparse_fill_mode_23rocsparse_storage_mode_P22rocsparse_data_status_.has_recursion, 0
	.set _ZN9rocsparseL23check_matrix_csr_deviceILj256ELj4E21rocsparse_complex_numIdEliEEvT3_S3_T2_PKT1_PKS4_PKS3_SB_21rocsparse_index_base_22rocsparse_matrix_type_20rocsparse_fill_mode_23rocsparse_storage_mode_P22rocsparse_data_status_.has_indirect_call, 0
	.section	.AMDGPU.csdata,"",@progbits
; Kernel info:
; codeLenInByte = 952
; TotalNumSgprs: 52
; NumVgprs: 20
; ScratchSize: 0
; MemoryBound: 0
; FloatMode: 240
; IeeeMode: 1
; LDSByteSize: 0 bytes/workgroup (compile time only)
; SGPRBlocks: 6
; VGPRBlocks: 4
; NumSGPRsForWavesPerEU: 52
; NumVGPRsForWavesPerEU: 20
; Occupancy: 10
; WaveLimiterHint : 0
; COMPUTE_PGM_RSRC2:SCRATCH_EN: 0
; COMPUTE_PGM_RSRC2:USER_SGPR: 6
; COMPUTE_PGM_RSRC2:TRAP_HANDLER: 0
; COMPUTE_PGM_RSRC2:TGID_X_EN: 1
; COMPUTE_PGM_RSRC2:TGID_Y_EN: 0
; COMPUTE_PGM_RSRC2:TGID_Z_EN: 0
; COMPUTE_PGM_RSRC2:TIDIG_COMP_CNT: 0
	.section	.text._ZN9rocsparseL23check_matrix_csr_deviceILj256ELj8E21rocsparse_complex_numIdEliEEvT3_S3_T2_PKT1_PKS4_PKS3_SB_21rocsparse_index_base_22rocsparse_matrix_type_20rocsparse_fill_mode_23rocsparse_storage_mode_P22rocsparse_data_status_,"axG",@progbits,_ZN9rocsparseL23check_matrix_csr_deviceILj256ELj8E21rocsparse_complex_numIdEliEEvT3_S3_T2_PKT1_PKS4_PKS3_SB_21rocsparse_index_base_22rocsparse_matrix_type_20rocsparse_fill_mode_23rocsparse_storage_mode_P22rocsparse_data_status_,comdat
	.globl	_ZN9rocsparseL23check_matrix_csr_deviceILj256ELj8E21rocsparse_complex_numIdEliEEvT3_S3_T2_PKT1_PKS4_PKS3_SB_21rocsparse_index_base_22rocsparse_matrix_type_20rocsparse_fill_mode_23rocsparse_storage_mode_P22rocsparse_data_status_ ; -- Begin function _ZN9rocsparseL23check_matrix_csr_deviceILj256ELj8E21rocsparse_complex_numIdEliEEvT3_S3_T2_PKT1_PKS4_PKS3_SB_21rocsparse_index_base_22rocsparse_matrix_type_20rocsparse_fill_mode_23rocsparse_storage_mode_P22rocsparse_data_status_
	.p2align	8
	.type	_ZN9rocsparseL23check_matrix_csr_deviceILj256ELj8E21rocsparse_complex_numIdEliEEvT3_S3_T2_PKT1_PKS4_PKS3_SB_21rocsparse_index_base_22rocsparse_matrix_type_20rocsparse_fill_mode_23rocsparse_storage_mode_P22rocsparse_data_status_,@function
_ZN9rocsparseL23check_matrix_csr_deviceILj256ELj8E21rocsparse_complex_numIdEliEEvT3_S3_T2_PKT1_PKS4_PKS3_SB_21rocsparse_index_base_22rocsparse_matrix_type_20rocsparse_fill_mode_23rocsparse_storage_mode_P22rocsparse_data_status_: ; @_ZN9rocsparseL23check_matrix_csr_deviceILj256ELj8E21rocsparse_complex_numIdEliEEvT3_S3_T2_PKT1_PKS4_PKS3_SB_21rocsparse_index_base_22rocsparse_matrix_type_20rocsparse_fill_mode_23rocsparse_storage_mode_P22rocsparse_data_status_
; %bb.0:
	s_load_dwordx2 s[16:17], s[4:5], 0x0
	v_lshl_or_b32 v1, s6, 8, v0
	v_lshrrev_b32_e32 v16, 3, v1
	s_waitcnt lgkmcnt(0)
	v_cmp_gt_i32_e32 vcc, s16, v16
	s_and_saveexec_b64 s[0:1], vcc
	s_cbranch_execz .LBB54_31
; %bb.1:
	s_load_dwordx2 s[0:1], s[4:5], 0x18
	v_lshlrev_b32_e32 v1, 3, v16
	v_mov_b32_e32 v17, 3
	s_mov_b64 s[10:11], -1
	s_mov_b64 s[8:9], 0
	s_waitcnt lgkmcnt(0)
	global_load_dwordx4 v[8:11], v1, s[0:1]
	s_load_dwordx2 s[0:1], s[0:1], 0x0
	s_waitcnt lgkmcnt(0)
	v_mov_b32_e32 v1, s1
	s_waitcnt vmcnt(0)
	v_subrev_co_u32_e32 v4, vcc, s0, v8
	v_subb_co_u32_e32 v5, vcc, v9, v1, vcc
	v_subrev_co_u32_e32 v6, vcc, s0, v10
	v_subb_co_u32_e32 v7, vcc, v11, v1, vcc
	v_cmp_gt_i64_e64 s[0:1], 0, v[6:7]
	v_cmp_lt_i64_e64 s[2:3], v[10:11], v[8:9]
	v_cmp_lt_i64_e32 vcc, -1, v[4:5]
	s_or_b64 s[0:1], s[0:1], s[2:3]
	s_xor_b64 s[0:1], s[0:1], -1
	s_and_b64 s[0:1], vcc, s[0:1]
	s_and_saveexec_b64 s[6:7], s[0:1]
	s_cbranch_execz .LBB54_29
; %bb.2:
	v_and_b32_e32 v0, 7, v0
	v_add_co_u32_e32 v8, vcc, v4, v0
	v_addc_co_u32_e32 v9, vcc, 0, v5, vcc
	v_cmp_lt_u64_e32 vcc, v[8:9], v[6:7]
	v_mov_b32_e32 v17, 3
	s_and_saveexec_b64 s[18:19], vcc
	s_cbranch_execz .LBB54_28
; %bb.3:
	s_load_dwordx8 s[8:15], s[4:5], 0x20
	s_load_dwordx2 s[0:1], s[4:5], 0x10
	v_lshlrev_b64 v[0:1], 2, v[8:9]
                                        ; implicit-def: $sgpr24_sgpr25
                                        ; implicit-def: $sgpr26_sgpr27
                                        ; implicit-def: $sgpr28_sgpr29
	v_add_co_u32_e32 v0, vcc, -4, v0
	v_addc_co_u32_e32 v1, vcc, -1, v1, vcc
	s_waitcnt lgkmcnt(0)
	v_mov_b32_e32 v2, s11
	v_add_co_u32_e32 v10, vcc, s10, v0
	v_addc_co_u32_e32 v11, vcc, v2, v1, vcc
	v_mov_b32_e32 v2, s9
	v_add_co_u32_e32 v12, vcc, s8, v0
	v_addc_co_u32_e32 v13, vcc, v2, v1, vcc
	v_lshlrev_b64 v[0:1], 4, v[8:9]
	s_cmp_lg_u32 s13, 0
	v_mov_b32_e32 v2, s1
	v_add_co_u32_e32 v0, vcc, s0, v0
	s_cselect_b64 s[20:21], -1, 0
	s_cmp_lg_u32 s14, 0
	v_addc_co_u32_e32 v1, vcc, v2, v1, vcc
	s_cselect_b64 s[22:23], -1, 0
	s_cmp_lg_u32 s15, 0
	v_add_co_u32_e32 v14, vcc, 8, v0
	s_mov_b32 s10, 0
	s_cselect_b64 s[14:15], -1, 0
	v_addc_co_u32_e32 v15, vcc, 0, v1, vcc
	s_mov_b32 s11, 0x7ff00000
	s_mov_b64 s[8:9], 0
	s_branch .LBB54_10
.LBB54_4:                               ;   in Loop: Header=BB54_10 Depth=1
	s_or_b64 exec, exec, s[0:1]
	s_orn2_b64 s[44:45], s[2:3], exec
	s_orn2_b64 s[0:1], s[40:41], exec
.LBB54_5:                               ;   in Loop: Header=BB54_10 Depth=1
	s_or_b64 exec, exec, s[42:43]
	s_orn2_b64 s[2:3], s[44:45], exec
	s_orn2_b64 s[0:1], s[0:1], exec
.LBB54_6:                               ;   in Loop: Header=BB54_10 Depth=1
	s_or_b64 exec, exec, s[38:39]
	s_orn2_b64 s[38:39], s[2:3], exec
	s_orn2_b64 s[2:3], s[0:1], exec
.LBB54_7:                               ;   in Loop: Header=BB54_10 Depth=1
	s_or_b64 exec, exec, s[36:37]
	s_orn2_b64 s[36:37], s[38:39], exec
	s_orn2_b64 s[0:1], s[2:3], exec
.LBB54_8:                               ;   in Loop: Header=BB54_10 Depth=1
	s_or_b64 exec, exec, s[34:35]
	s_andn2_b64 s[2:3], s[28:29], exec
	s_and_b64 s[28:29], s[36:37], exec
	s_or_b64 s[28:29], s[2:3], s[28:29]
	s_andn2_b64 s[2:3], s[26:27], exec
	s_and_b64 s[0:1], s[0:1], exec
	s_or_b64 s[26:27], s[2:3], s[0:1]
.LBB54_9:                               ;   in Loop: Header=BB54_10 Depth=1
	s_or_b64 exec, exec, s[30:31]
	s_and_b64 s[0:1], exec, s[26:27]
	s_or_b64 s[8:9], s[0:1], s[8:9]
	s_andn2_b64 s[0:1], s[24:25], exec
	s_and_b64 s[2:3], s[28:29], exec
	s_or_b64 s[24:25], s[0:1], s[2:3]
	s_andn2_b64 exec, exec, s[8:9]
	s_cbranch_execz .LBB54_27
.LBB54_10:                              ; =>This Inner Loop Header: Depth=1
	global_load_dword v18, v[12:13], off offset:4
	v_mov_b32_e32 v17, 4
	s_or_b64 s[28:29], s[28:29], exec
	s_or_b64 s[26:27], s[26:27], exec
	s_waitcnt vmcnt(0)
	v_subrev_u32_e32 v19, s12, v18
	v_cmp_lt_i32_e32 vcc, -1, v19
	v_cmp_gt_i32_e64 s[0:1], s17, v19
	s_and_b64 s[0:1], vcc, s[0:1]
	s_and_saveexec_b64 s[30:31], s[0:1]
	s_cbranch_execz .LBB54_9
; %bb.11:                               ;   in Loop: Header=BB54_10 Depth=1
	v_cmp_le_i64_e64 s[40:41], v[8:9], v[4:5]
	v_cmp_gt_i64_e32 vcc, v[8:9], v[4:5]
	v_mov_b32_e32 v17, 4
	s_mov_b64 s[2:3], s[40:41]
	s_and_saveexec_b64 s[34:35], vcc
	s_cbranch_execz .LBB54_13
; %bb.12:                               ;   in Loop: Header=BB54_10 Depth=1
	global_load_dwordx2 v[0:1], v[10:11], off
	v_mov_b32_e32 v17, 5
	s_waitcnt vmcnt(0)
	v_subrev_u32_e32 v2, s12, v0
	v_cmp_lt_i32_e64 s[0:1], -1, v2
	v_cmp_gt_i32_e64 s[2:3], s17, v2
	s_and_b64 s[0:1], s[0:1], s[2:3]
	v_cmp_ne_u32_e32 vcc, v1, v0
	s_xor_b64 s[0:1], s[0:1], -1
	s_or_b64 s[0:1], vcc, s[0:1]
	s_andn2_b64 s[2:3], s[40:41], exec
	s_and_b64 s[0:1], s[0:1], exec
	s_or_b64 s[2:3], s[2:3], s[0:1]
.LBB54_13:                              ;   in Loop: Header=BB54_10 Depth=1
	s_or_b64 exec, exec, s[34:35]
	s_mov_b64 s[0:1], -1
	s_mov_b64 s[36:37], -1
	s_and_saveexec_b64 s[34:35], s[2:3]
	s_cbranch_execz .LBB54_8
; %bb.14:                               ;   in Loop: Header=BB54_10 Depth=1
	global_load_dwordx4 v[0:3], v[14:15], off offset:-8
	v_mov_b32_e32 v17, 1
	s_mov_b64 s[2:3], -1
	s_mov_b64 s[38:39], -1
	s_waitcnt vmcnt(0)
	v_cmp_neq_f64_e32 vcc, s[10:11], v[0:1]
	v_cmp_neq_f64_e64 s[0:1], s[10:11], v[2:3]
	s_and_b64 s[0:1], vcc, s[0:1]
	s_and_saveexec_b64 s[36:37], s[0:1]
	s_cbranch_execz .LBB54_7
; %bb.15:                               ;   in Loop: Header=BB54_10 Depth=1
	v_cmp_o_f64_e32 vcc, v[0:1], v[2:3]
	v_mov_b32_e32 v17, 2
	s_mov_b64 s[0:1], -1
	s_and_saveexec_b64 s[38:39], vcc
	s_cbranch_execz .LBB54_6
; %bb.16:                               ;   in Loop: Header=BB54_10 Depth=1
	s_and_b64 vcc, exec, s[20:21]
	s_cbranch_vccz .LBB54_19
; %bb.17:                               ;   in Loop: Header=BB54_10 Depth=1
	s_and_b64 vcc, exec, s[22:23]
	s_cbranch_vccz .LBB54_20
; %bb.18:                               ;   in Loop: Header=BB54_10 Depth=1
	v_cmp_le_i32_e32 vcc, v16, v19
	s_mov_b32 s13, 7
	s_and_b64 s[2:3], vcc, exec
	s_cbranch_execz .LBB54_21
	s_branch .LBB54_22
.LBB54_19:                              ;   in Loop: Header=BB54_10 Depth=1
	s_mov_b32 s13, 2
	s_branch .LBB54_22
.LBB54_20:                              ;   in Loop: Header=BB54_10 Depth=1
	s_mov_b64 s[2:3], 0
	s_mov_b32 s13, 2
.LBB54_21:                              ;   in Loop: Header=BB54_10 Depth=1
	v_cmp_ge_i32_e32 vcc, v16, v19
	s_andn2_b64 s[2:3], s[2:3], exec
	s_and_b64 s[42:43], vcc, exec
	s_mov_b32 s13, 7
	s_or_b64 s[2:3], s[2:3], s[42:43]
.LBB54_22:                              ;   in Loop: Header=BB54_10 Depth=1
	v_mov_b32_e32 v17, s13
	s_mov_b64 s[44:45], -1
	s_and_saveexec_b64 s[42:43], s[2:3]
	s_cbranch_execz .LBB54_5
; %bb.23:                               ;   in Loop: Header=BB54_10 Depth=1
	s_nor_b64 s[0:1], s[14:15], s[40:41]
	s_mov_b64 s[40:41], -1
	v_mov_b32_e32 v17, s13
	s_and_saveexec_b64 s[46:47], s[0:1]
	s_cbranch_execz .LBB54_25
; %bb.24:                               ;   in Loop: Header=BB54_10 Depth=1
	global_load_dword v0, v[12:13], off
	v_mov_b32_e32 v17, 6
	s_waitcnt vmcnt(0)
	v_subrev_u32_e32 v1, s12, v0
	v_cmp_lt_i32_e64 s[0:1], -1, v1
	v_cmp_gt_i32_e64 s[2:3], s17, v1
	s_and_b64 s[0:1], s[0:1], s[2:3]
	v_cmp_gt_i32_e32 vcc, v18, v0
	s_xor_b64 s[0:1], s[0:1], -1
	s_or_b64 s[0:1], vcc, s[0:1]
	s_orn2_b64 s[44:45], s[0:1], exec
.LBB54_25:                              ;   in Loop: Header=BB54_10 Depth=1
	s_or_b64 exec, exec, s[46:47]
	s_mov_b64 s[2:3], -1
	s_and_saveexec_b64 s[0:1], s[44:45]
	s_cbranch_execz .LBB54_4
; %bb.26:                               ;   in Loop: Header=BB54_10 Depth=1
	v_add_co_u32_e32 v8, vcc, 8, v8
	v_addc_co_u32_e32 v9, vcc, 0, v9, vcc
	v_add_co_u32_e32 v10, vcc, 32, v10
	v_addc_co_u32_e32 v11, vcc, 0, v11, vcc
	v_add_co_u32_e32 v12, vcc, 32, v12
	v_addc_co_u32_e32 v13, vcc, 0, v13, vcc
	v_add_co_u32_e32 v14, vcc, 0x80, v14
	v_addc_co_u32_e32 v15, vcc, 0, v15, vcc
	v_cmp_ge_i64_e32 vcc, v[8:9], v[6:7]
	s_xor_b64 s[2:3], exec, -1
	s_orn2_b64 s[40:41], vcc, exec
	s_branch .LBB54_4
.LBB54_27:
	s_or_b64 exec, exec, s[8:9]
	s_and_b64 s[8:9], s[24:25], exec
.LBB54_28:
	s_or_b64 exec, exec, s[18:19]
	s_orn2_b64 s[10:11], s[8:9], exec
.LBB54_29:
	s_or_b64 exec, exec, s[6:7]
	s_and_b64 exec, exec, s[10:11]
	s_cbranch_execz .LBB54_31
; %bb.30:
	s_load_dwordx2 s[0:1], s[4:5], 0x40
	v_mov_b32_e32 v0, 0
	s_waitcnt lgkmcnt(0)
	global_store_dword v0, v17, s[0:1]
.LBB54_31:
	s_endpgm
	.section	.rodata,"a",@progbits
	.p2align	6, 0x0
	.amdhsa_kernel _ZN9rocsparseL23check_matrix_csr_deviceILj256ELj8E21rocsparse_complex_numIdEliEEvT3_S3_T2_PKT1_PKS4_PKS3_SB_21rocsparse_index_base_22rocsparse_matrix_type_20rocsparse_fill_mode_23rocsparse_storage_mode_P22rocsparse_data_status_
		.amdhsa_group_segment_fixed_size 0
		.amdhsa_private_segment_fixed_size 0
		.amdhsa_kernarg_size 72
		.amdhsa_user_sgpr_count 6
		.amdhsa_user_sgpr_private_segment_buffer 1
		.amdhsa_user_sgpr_dispatch_ptr 0
		.amdhsa_user_sgpr_queue_ptr 0
		.amdhsa_user_sgpr_kernarg_segment_ptr 1
		.amdhsa_user_sgpr_dispatch_id 0
		.amdhsa_user_sgpr_flat_scratch_init 0
		.amdhsa_user_sgpr_private_segment_size 0
		.amdhsa_uses_dynamic_stack 0
		.amdhsa_system_sgpr_private_segment_wavefront_offset 0
		.amdhsa_system_sgpr_workgroup_id_x 1
		.amdhsa_system_sgpr_workgroup_id_y 0
		.amdhsa_system_sgpr_workgroup_id_z 0
		.amdhsa_system_sgpr_workgroup_info 0
		.amdhsa_system_vgpr_workitem_id 0
		.amdhsa_next_free_vgpr 20
		.amdhsa_next_free_sgpr 48
		.amdhsa_reserve_vcc 1
		.amdhsa_reserve_flat_scratch 0
		.amdhsa_float_round_mode_32 0
		.amdhsa_float_round_mode_16_64 0
		.amdhsa_float_denorm_mode_32 3
		.amdhsa_float_denorm_mode_16_64 3
		.amdhsa_dx10_clamp 1
		.amdhsa_ieee_mode 1
		.amdhsa_fp16_overflow 0
		.amdhsa_exception_fp_ieee_invalid_op 0
		.amdhsa_exception_fp_denorm_src 0
		.amdhsa_exception_fp_ieee_div_zero 0
		.amdhsa_exception_fp_ieee_overflow 0
		.amdhsa_exception_fp_ieee_underflow 0
		.amdhsa_exception_fp_ieee_inexact 0
		.amdhsa_exception_int_div_zero 0
	.end_amdhsa_kernel
	.section	.text._ZN9rocsparseL23check_matrix_csr_deviceILj256ELj8E21rocsparse_complex_numIdEliEEvT3_S3_T2_PKT1_PKS4_PKS3_SB_21rocsparse_index_base_22rocsparse_matrix_type_20rocsparse_fill_mode_23rocsparse_storage_mode_P22rocsparse_data_status_,"axG",@progbits,_ZN9rocsparseL23check_matrix_csr_deviceILj256ELj8E21rocsparse_complex_numIdEliEEvT3_S3_T2_PKT1_PKS4_PKS3_SB_21rocsparse_index_base_22rocsparse_matrix_type_20rocsparse_fill_mode_23rocsparse_storage_mode_P22rocsparse_data_status_,comdat
.Lfunc_end54:
	.size	_ZN9rocsparseL23check_matrix_csr_deviceILj256ELj8E21rocsparse_complex_numIdEliEEvT3_S3_T2_PKT1_PKS4_PKS3_SB_21rocsparse_index_base_22rocsparse_matrix_type_20rocsparse_fill_mode_23rocsparse_storage_mode_P22rocsparse_data_status_, .Lfunc_end54-_ZN9rocsparseL23check_matrix_csr_deviceILj256ELj8E21rocsparse_complex_numIdEliEEvT3_S3_T2_PKT1_PKS4_PKS3_SB_21rocsparse_index_base_22rocsparse_matrix_type_20rocsparse_fill_mode_23rocsparse_storage_mode_P22rocsparse_data_status_
                                        ; -- End function
	.set _ZN9rocsparseL23check_matrix_csr_deviceILj256ELj8E21rocsparse_complex_numIdEliEEvT3_S3_T2_PKT1_PKS4_PKS3_SB_21rocsparse_index_base_22rocsparse_matrix_type_20rocsparse_fill_mode_23rocsparse_storage_mode_P22rocsparse_data_status_.num_vgpr, 20
	.set _ZN9rocsparseL23check_matrix_csr_deviceILj256ELj8E21rocsparse_complex_numIdEliEEvT3_S3_T2_PKT1_PKS4_PKS3_SB_21rocsparse_index_base_22rocsparse_matrix_type_20rocsparse_fill_mode_23rocsparse_storage_mode_P22rocsparse_data_status_.num_agpr, 0
	.set _ZN9rocsparseL23check_matrix_csr_deviceILj256ELj8E21rocsparse_complex_numIdEliEEvT3_S3_T2_PKT1_PKS4_PKS3_SB_21rocsparse_index_base_22rocsparse_matrix_type_20rocsparse_fill_mode_23rocsparse_storage_mode_P22rocsparse_data_status_.numbered_sgpr, 48
	.set _ZN9rocsparseL23check_matrix_csr_deviceILj256ELj8E21rocsparse_complex_numIdEliEEvT3_S3_T2_PKT1_PKS4_PKS3_SB_21rocsparse_index_base_22rocsparse_matrix_type_20rocsparse_fill_mode_23rocsparse_storage_mode_P22rocsparse_data_status_.num_named_barrier, 0
	.set _ZN9rocsparseL23check_matrix_csr_deviceILj256ELj8E21rocsparse_complex_numIdEliEEvT3_S3_T2_PKT1_PKS4_PKS3_SB_21rocsparse_index_base_22rocsparse_matrix_type_20rocsparse_fill_mode_23rocsparse_storage_mode_P22rocsparse_data_status_.private_seg_size, 0
	.set _ZN9rocsparseL23check_matrix_csr_deviceILj256ELj8E21rocsparse_complex_numIdEliEEvT3_S3_T2_PKT1_PKS4_PKS3_SB_21rocsparse_index_base_22rocsparse_matrix_type_20rocsparse_fill_mode_23rocsparse_storage_mode_P22rocsparse_data_status_.uses_vcc, 1
	.set _ZN9rocsparseL23check_matrix_csr_deviceILj256ELj8E21rocsparse_complex_numIdEliEEvT3_S3_T2_PKT1_PKS4_PKS3_SB_21rocsparse_index_base_22rocsparse_matrix_type_20rocsparse_fill_mode_23rocsparse_storage_mode_P22rocsparse_data_status_.uses_flat_scratch, 0
	.set _ZN9rocsparseL23check_matrix_csr_deviceILj256ELj8E21rocsparse_complex_numIdEliEEvT3_S3_T2_PKT1_PKS4_PKS3_SB_21rocsparse_index_base_22rocsparse_matrix_type_20rocsparse_fill_mode_23rocsparse_storage_mode_P22rocsparse_data_status_.has_dyn_sized_stack, 0
	.set _ZN9rocsparseL23check_matrix_csr_deviceILj256ELj8E21rocsparse_complex_numIdEliEEvT3_S3_T2_PKT1_PKS4_PKS3_SB_21rocsparse_index_base_22rocsparse_matrix_type_20rocsparse_fill_mode_23rocsparse_storage_mode_P22rocsparse_data_status_.has_recursion, 0
	.set _ZN9rocsparseL23check_matrix_csr_deviceILj256ELj8E21rocsparse_complex_numIdEliEEvT3_S3_T2_PKT1_PKS4_PKS3_SB_21rocsparse_index_base_22rocsparse_matrix_type_20rocsparse_fill_mode_23rocsparse_storage_mode_P22rocsparse_data_status_.has_indirect_call, 0
	.section	.AMDGPU.csdata,"",@progbits
; Kernel info:
; codeLenInByte = 936
; TotalNumSgprs: 52
; NumVgprs: 20
; ScratchSize: 0
; MemoryBound: 0
; FloatMode: 240
; IeeeMode: 1
; LDSByteSize: 0 bytes/workgroup (compile time only)
; SGPRBlocks: 6
; VGPRBlocks: 4
; NumSGPRsForWavesPerEU: 52
; NumVGPRsForWavesPerEU: 20
; Occupancy: 10
; WaveLimiterHint : 0
; COMPUTE_PGM_RSRC2:SCRATCH_EN: 0
; COMPUTE_PGM_RSRC2:USER_SGPR: 6
; COMPUTE_PGM_RSRC2:TRAP_HANDLER: 0
; COMPUTE_PGM_RSRC2:TGID_X_EN: 1
; COMPUTE_PGM_RSRC2:TGID_Y_EN: 0
; COMPUTE_PGM_RSRC2:TGID_Z_EN: 0
; COMPUTE_PGM_RSRC2:TIDIG_COMP_CNT: 0
	.section	.text._ZN9rocsparseL23check_matrix_csr_deviceILj256ELj16E21rocsparse_complex_numIdEliEEvT3_S3_T2_PKT1_PKS4_PKS3_SB_21rocsparse_index_base_22rocsparse_matrix_type_20rocsparse_fill_mode_23rocsparse_storage_mode_P22rocsparse_data_status_,"axG",@progbits,_ZN9rocsparseL23check_matrix_csr_deviceILj256ELj16E21rocsparse_complex_numIdEliEEvT3_S3_T2_PKT1_PKS4_PKS3_SB_21rocsparse_index_base_22rocsparse_matrix_type_20rocsparse_fill_mode_23rocsparse_storage_mode_P22rocsparse_data_status_,comdat
	.globl	_ZN9rocsparseL23check_matrix_csr_deviceILj256ELj16E21rocsparse_complex_numIdEliEEvT3_S3_T2_PKT1_PKS4_PKS3_SB_21rocsparse_index_base_22rocsparse_matrix_type_20rocsparse_fill_mode_23rocsparse_storage_mode_P22rocsparse_data_status_ ; -- Begin function _ZN9rocsparseL23check_matrix_csr_deviceILj256ELj16E21rocsparse_complex_numIdEliEEvT3_S3_T2_PKT1_PKS4_PKS3_SB_21rocsparse_index_base_22rocsparse_matrix_type_20rocsparse_fill_mode_23rocsparse_storage_mode_P22rocsparse_data_status_
	.p2align	8
	.type	_ZN9rocsparseL23check_matrix_csr_deviceILj256ELj16E21rocsparse_complex_numIdEliEEvT3_S3_T2_PKT1_PKS4_PKS3_SB_21rocsparse_index_base_22rocsparse_matrix_type_20rocsparse_fill_mode_23rocsparse_storage_mode_P22rocsparse_data_status_,@function
_ZN9rocsparseL23check_matrix_csr_deviceILj256ELj16E21rocsparse_complex_numIdEliEEvT3_S3_T2_PKT1_PKS4_PKS3_SB_21rocsparse_index_base_22rocsparse_matrix_type_20rocsparse_fill_mode_23rocsparse_storage_mode_P22rocsparse_data_status_: ; @_ZN9rocsparseL23check_matrix_csr_deviceILj256ELj16E21rocsparse_complex_numIdEliEEvT3_S3_T2_PKT1_PKS4_PKS3_SB_21rocsparse_index_base_22rocsparse_matrix_type_20rocsparse_fill_mode_23rocsparse_storage_mode_P22rocsparse_data_status_
; %bb.0:
	s_load_dwordx2 s[16:17], s[4:5], 0x0
	v_lshl_or_b32 v1, s6, 8, v0
	v_lshrrev_b32_e32 v16, 4, v1
	s_waitcnt lgkmcnt(0)
	v_cmp_gt_i32_e32 vcc, s16, v16
	s_and_saveexec_b64 s[0:1], vcc
	s_cbranch_execz .LBB55_31
; %bb.1:
	s_load_dwordx2 s[0:1], s[4:5], 0x18
	v_lshlrev_b32_e32 v1, 3, v16
	v_mov_b32_e32 v17, 3
	s_mov_b64 s[10:11], -1
	s_mov_b64 s[8:9], 0
	s_waitcnt lgkmcnt(0)
	global_load_dwordx4 v[8:11], v1, s[0:1]
	s_load_dwordx2 s[0:1], s[0:1], 0x0
	s_waitcnt lgkmcnt(0)
	v_mov_b32_e32 v1, s1
	s_waitcnt vmcnt(0)
	v_subrev_co_u32_e32 v4, vcc, s0, v8
	v_subb_co_u32_e32 v5, vcc, v9, v1, vcc
	v_subrev_co_u32_e32 v6, vcc, s0, v10
	v_subb_co_u32_e32 v7, vcc, v11, v1, vcc
	v_cmp_gt_i64_e64 s[0:1], 0, v[6:7]
	v_cmp_lt_i64_e64 s[2:3], v[10:11], v[8:9]
	v_cmp_lt_i64_e32 vcc, -1, v[4:5]
	s_or_b64 s[0:1], s[0:1], s[2:3]
	s_xor_b64 s[0:1], s[0:1], -1
	s_and_b64 s[0:1], vcc, s[0:1]
	s_and_saveexec_b64 s[6:7], s[0:1]
	s_cbranch_execz .LBB55_29
; %bb.2:
	v_and_b32_e32 v0, 15, v0
	v_add_co_u32_e32 v8, vcc, v4, v0
	v_addc_co_u32_e32 v9, vcc, 0, v5, vcc
	v_cmp_lt_u64_e32 vcc, v[8:9], v[6:7]
	v_mov_b32_e32 v17, 3
	s_and_saveexec_b64 s[18:19], vcc
	s_cbranch_execz .LBB55_28
; %bb.3:
	s_load_dwordx8 s[8:15], s[4:5], 0x20
	s_load_dwordx2 s[0:1], s[4:5], 0x10
	v_lshlrev_b64 v[0:1], 2, v[8:9]
                                        ; implicit-def: $sgpr24_sgpr25
                                        ; implicit-def: $sgpr26_sgpr27
                                        ; implicit-def: $sgpr28_sgpr29
	v_add_co_u32_e32 v0, vcc, -4, v0
	v_addc_co_u32_e32 v1, vcc, -1, v1, vcc
	s_waitcnt lgkmcnt(0)
	v_mov_b32_e32 v2, s11
	v_add_co_u32_e32 v10, vcc, s10, v0
	v_addc_co_u32_e32 v11, vcc, v2, v1, vcc
	v_mov_b32_e32 v2, s9
	v_add_co_u32_e32 v12, vcc, s8, v0
	v_addc_co_u32_e32 v13, vcc, v2, v1, vcc
	v_lshlrev_b64 v[0:1], 4, v[8:9]
	s_cmp_lg_u32 s13, 0
	v_mov_b32_e32 v2, s1
	v_add_co_u32_e32 v0, vcc, s0, v0
	s_cselect_b64 s[20:21], -1, 0
	s_cmp_lg_u32 s14, 0
	v_addc_co_u32_e32 v1, vcc, v2, v1, vcc
	s_cselect_b64 s[22:23], -1, 0
	s_cmp_lg_u32 s15, 0
	v_add_co_u32_e32 v14, vcc, 8, v0
	s_mov_b32 s10, 0
	s_cselect_b64 s[14:15], -1, 0
	v_addc_co_u32_e32 v15, vcc, 0, v1, vcc
	s_mov_b32 s11, 0x7ff00000
	s_mov_b64 s[8:9], 0
	s_branch .LBB55_10
.LBB55_4:                               ;   in Loop: Header=BB55_10 Depth=1
	s_or_b64 exec, exec, s[0:1]
	s_orn2_b64 s[44:45], s[2:3], exec
	s_orn2_b64 s[0:1], s[40:41], exec
.LBB55_5:                               ;   in Loop: Header=BB55_10 Depth=1
	s_or_b64 exec, exec, s[42:43]
	s_orn2_b64 s[2:3], s[44:45], exec
	s_orn2_b64 s[0:1], s[0:1], exec
.LBB55_6:                               ;   in Loop: Header=BB55_10 Depth=1
	s_or_b64 exec, exec, s[38:39]
	s_orn2_b64 s[38:39], s[2:3], exec
	s_orn2_b64 s[2:3], s[0:1], exec
.LBB55_7:                               ;   in Loop: Header=BB55_10 Depth=1
	s_or_b64 exec, exec, s[36:37]
	s_orn2_b64 s[36:37], s[38:39], exec
	s_orn2_b64 s[0:1], s[2:3], exec
.LBB55_8:                               ;   in Loop: Header=BB55_10 Depth=1
	s_or_b64 exec, exec, s[34:35]
	s_andn2_b64 s[2:3], s[28:29], exec
	s_and_b64 s[28:29], s[36:37], exec
	s_or_b64 s[28:29], s[2:3], s[28:29]
	s_andn2_b64 s[2:3], s[26:27], exec
	s_and_b64 s[0:1], s[0:1], exec
	s_or_b64 s[26:27], s[2:3], s[0:1]
.LBB55_9:                               ;   in Loop: Header=BB55_10 Depth=1
	s_or_b64 exec, exec, s[30:31]
	s_and_b64 s[0:1], exec, s[26:27]
	s_or_b64 s[8:9], s[0:1], s[8:9]
	s_andn2_b64 s[0:1], s[24:25], exec
	s_and_b64 s[2:3], s[28:29], exec
	s_or_b64 s[24:25], s[0:1], s[2:3]
	s_andn2_b64 exec, exec, s[8:9]
	s_cbranch_execz .LBB55_27
.LBB55_10:                              ; =>This Inner Loop Header: Depth=1
	global_load_dword v18, v[12:13], off offset:4
	v_mov_b32_e32 v17, 4
	s_or_b64 s[28:29], s[28:29], exec
	s_or_b64 s[26:27], s[26:27], exec
	s_waitcnt vmcnt(0)
	v_subrev_u32_e32 v19, s12, v18
	v_cmp_lt_i32_e32 vcc, -1, v19
	v_cmp_gt_i32_e64 s[0:1], s17, v19
	s_and_b64 s[0:1], vcc, s[0:1]
	s_and_saveexec_b64 s[30:31], s[0:1]
	s_cbranch_execz .LBB55_9
; %bb.11:                               ;   in Loop: Header=BB55_10 Depth=1
	v_cmp_le_i64_e64 s[40:41], v[8:9], v[4:5]
	v_cmp_gt_i64_e32 vcc, v[8:9], v[4:5]
	v_mov_b32_e32 v17, 4
	s_mov_b64 s[2:3], s[40:41]
	s_and_saveexec_b64 s[34:35], vcc
	s_cbranch_execz .LBB55_13
; %bb.12:                               ;   in Loop: Header=BB55_10 Depth=1
	global_load_dwordx2 v[0:1], v[10:11], off
	v_mov_b32_e32 v17, 5
	s_waitcnt vmcnt(0)
	v_subrev_u32_e32 v2, s12, v0
	v_cmp_lt_i32_e64 s[0:1], -1, v2
	v_cmp_gt_i32_e64 s[2:3], s17, v2
	s_and_b64 s[0:1], s[0:1], s[2:3]
	v_cmp_ne_u32_e32 vcc, v1, v0
	s_xor_b64 s[0:1], s[0:1], -1
	s_or_b64 s[0:1], vcc, s[0:1]
	s_andn2_b64 s[2:3], s[40:41], exec
	s_and_b64 s[0:1], s[0:1], exec
	s_or_b64 s[2:3], s[2:3], s[0:1]
.LBB55_13:                              ;   in Loop: Header=BB55_10 Depth=1
	s_or_b64 exec, exec, s[34:35]
	s_mov_b64 s[0:1], -1
	s_mov_b64 s[36:37], -1
	s_and_saveexec_b64 s[34:35], s[2:3]
	s_cbranch_execz .LBB55_8
; %bb.14:                               ;   in Loop: Header=BB55_10 Depth=1
	global_load_dwordx4 v[0:3], v[14:15], off offset:-8
	v_mov_b32_e32 v17, 1
	s_mov_b64 s[2:3], -1
	s_mov_b64 s[38:39], -1
	s_waitcnt vmcnt(0)
	v_cmp_neq_f64_e32 vcc, s[10:11], v[0:1]
	v_cmp_neq_f64_e64 s[0:1], s[10:11], v[2:3]
	s_and_b64 s[0:1], vcc, s[0:1]
	s_and_saveexec_b64 s[36:37], s[0:1]
	s_cbranch_execz .LBB55_7
; %bb.15:                               ;   in Loop: Header=BB55_10 Depth=1
	v_cmp_o_f64_e32 vcc, v[0:1], v[2:3]
	v_mov_b32_e32 v17, 2
	s_mov_b64 s[0:1], -1
	s_and_saveexec_b64 s[38:39], vcc
	s_cbranch_execz .LBB55_6
; %bb.16:                               ;   in Loop: Header=BB55_10 Depth=1
	s_and_b64 vcc, exec, s[20:21]
	s_cbranch_vccz .LBB55_19
; %bb.17:                               ;   in Loop: Header=BB55_10 Depth=1
	s_and_b64 vcc, exec, s[22:23]
	s_cbranch_vccz .LBB55_20
; %bb.18:                               ;   in Loop: Header=BB55_10 Depth=1
	v_cmp_le_i32_e32 vcc, v16, v19
	s_mov_b32 s13, 7
	s_and_b64 s[2:3], vcc, exec
	s_cbranch_execz .LBB55_21
	s_branch .LBB55_22
.LBB55_19:                              ;   in Loop: Header=BB55_10 Depth=1
	s_mov_b32 s13, 2
	s_branch .LBB55_22
.LBB55_20:                              ;   in Loop: Header=BB55_10 Depth=1
	s_mov_b64 s[2:3], 0
	s_mov_b32 s13, 2
.LBB55_21:                              ;   in Loop: Header=BB55_10 Depth=1
	v_cmp_ge_i32_e32 vcc, v16, v19
	s_andn2_b64 s[2:3], s[2:3], exec
	s_and_b64 s[42:43], vcc, exec
	s_mov_b32 s13, 7
	s_or_b64 s[2:3], s[2:3], s[42:43]
.LBB55_22:                              ;   in Loop: Header=BB55_10 Depth=1
	v_mov_b32_e32 v17, s13
	s_mov_b64 s[44:45], -1
	s_and_saveexec_b64 s[42:43], s[2:3]
	s_cbranch_execz .LBB55_5
; %bb.23:                               ;   in Loop: Header=BB55_10 Depth=1
	s_nor_b64 s[0:1], s[14:15], s[40:41]
	s_mov_b64 s[40:41], -1
	v_mov_b32_e32 v17, s13
	s_and_saveexec_b64 s[46:47], s[0:1]
	s_cbranch_execz .LBB55_25
; %bb.24:                               ;   in Loop: Header=BB55_10 Depth=1
	global_load_dword v0, v[12:13], off
	v_mov_b32_e32 v17, 6
	s_waitcnt vmcnt(0)
	v_subrev_u32_e32 v1, s12, v0
	v_cmp_lt_i32_e64 s[0:1], -1, v1
	v_cmp_gt_i32_e64 s[2:3], s17, v1
	s_and_b64 s[0:1], s[0:1], s[2:3]
	v_cmp_gt_i32_e32 vcc, v18, v0
	s_xor_b64 s[0:1], s[0:1], -1
	s_or_b64 s[0:1], vcc, s[0:1]
	s_orn2_b64 s[44:45], s[0:1], exec
.LBB55_25:                              ;   in Loop: Header=BB55_10 Depth=1
	s_or_b64 exec, exec, s[46:47]
	s_mov_b64 s[2:3], -1
	s_and_saveexec_b64 s[0:1], s[44:45]
	s_cbranch_execz .LBB55_4
; %bb.26:                               ;   in Loop: Header=BB55_10 Depth=1
	v_add_co_u32_e32 v8, vcc, 16, v8
	v_addc_co_u32_e32 v9, vcc, 0, v9, vcc
	v_add_co_u32_e32 v10, vcc, 64, v10
	v_addc_co_u32_e32 v11, vcc, 0, v11, vcc
	;; [unrolled: 2-line block ×4, first 2 shown]
	v_cmp_ge_i64_e32 vcc, v[8:9], v[6:7]
	s_xor_b64 s[2:3], exec, -1
	s_orn2_b64 s[40:41], vcc, exec
	s_branch .LBB55_4
.LBB55_27:
	s_or_b64 exec, exec, s[8:9]
	s_and_b64 s[8:9], s[24:25], exec
.LBB55_28:
	s_or_b64 exec, exec, s[18:19]
	s_orn2_b64 s[10:11], s[8:9], exec
.LBB55_29:
	s_or_b64 exec, exec, s[6:7]
	s_and_b64 exec, exec, s[10:11]
	s_cbranch_execz .LBB55_31
; %bb.30:
	s_load_dwordx2 s[0:1], s[4:5], 0x40
	v_mov_b32_e32 v0, 0
	s_waitcnt lgkmcnt(0)
	global_store_dword v0, v17, s[0:1]
.LBB55_31:
	s_endpgm
	.section	.rodata,"a",@progbits
	.p2align	6, 0x0
	.amdhsa_kernel _ZN9rocsparseL23check_matrix_csr_deviceILj256ELj16E21rocsparse_complex_numIdEliEEvT3_S3_T2_PKT1_PKS4_PKS3_SB_21rocsparse_index_base_22rocsparse_matrix_type_20rocsparse_fill_mode_23rocsparse_storage_mode_P22rocsparse_data_status_
		.amdhsa_group_segment_fixed_size 0
		.amdhsa_private_segment_fixed_size 0
		.amdhsa_kernarg_size 72
		.amdhsa_user_sgpr_count 6
		.amdhsa_user_sgpr_private_segment_buffer 1
		.amdhsa_user_sgpr_dispatch_ptr 0
		.amdhsa_user_sgpr_queue_ptr 0
		.amdhsa_user_sgpr_kernarg_segment_ptr 1
		.amdhsa_user_sgpr_dispatch_id 0
		.amdhsa_user_sgpr_flat_scratch_init 0
		.amdhsa_user_sgpr_private_segment_size 0
		.amdhsa_uses_dynamic_stack 0
		.amdhsa_system_sgpr_private_segment_wavefront_offset 0
		.amdhsa_system_sgpr_workgroup_id_x 1
		.amdhsa_system_sgpr_workgroup_id_y 0
		.amdhsa_system_sgpr_workgroup_id_z 0
		.amdhsa_system_sgpr_workgroup_info 0
		.amdhsa_system_vgpr_workitem_id 0
		.amdhsa_next_free_vgpr 20
		.amdhsa_next_free_sgpr 48
		.amdhsa_reserve_vcc 1
		.amdhsa_reserve_flat_scratch 0
		.amdhsa_float_round_mode_32 0
		.amdhsa_float_round_mode_16_64 0
		.amdhsa_float_denorm_mode_32 3
		.amdhsa_float_denorm_mode_16_64 3
		.amdhsa_dx10_clamp 1
		.amdhsa_ieee_mode 1
		.amdhsa_fp16_overflow 0
		.amdhsa_exception_fp_ieee_invalid_op 0
		.amdhsa_exception_fp_denorm_src 0
		.amdhsa_exception_fp_ieee_div_zero 0
		.amdhsa_exception_fp_ieee_overflow 0
		.amdhsa_exception_fp_ieee_underflow 0
		.amdhsa_exception_fp_ieee_inexact 0
		.amdhsa_exception_int_div_zero 0
	.end_amdhsa_kernel
	.section	.text._ZN9rocsparseL23check_matrix_csr_deviceILj256ELj16E21rocsparse_complex_numIdEliEEvT3_S3_T2_PKT1_PKS4_PKS3_SB_21rocsparse_index_base_22rocsparse_matrix_type_20rocsparse_fill_mode_23rocsparse_storage_mode_P22rocsparse_data_status_,"axG",@progbits,_ZN9rocsparseL23check_matrix_csr_deviceILj256ELj16E21rocsparse_complex_numIdEliEEvT3_S3_T2_PKT1_PKS4_PKS3_SB_21rocsparse_index_base_22rocsparse_matrix_type_20rocsparse_fill_mode_23rocsparse_storage_mode_P22rocsparse_data_status_,comdat
.Lfunc_end55:
	.size	_ZN9rocsparseL23check_matrix_csr_deviceILj256ELj16E21rocsparse_complex_numIdEliEEvT3_S3_T2_PKT1_PKS4_PKS3_SB_21rocsparse_index_base_22rocsparse_matrix_type_20rocsparse_fill_mode_23rocsparse_storage_mode_P22rocsparse_data_status_, .Lfunc_end55-_ZN9rocsparseL23check_matrix_csr_deviceILj256ELj16E21rocsparse_complex_numIdEliEEvT3_S3_T2_PKT1_PKS4_PKS3_SB_21rocsparse_index_base_22rocsparse_matrix_type_20rocsparse_fill_mode_23rocsparse_storage_mode_P22rocsparse_data_status_
                                        ; -- End function
	.set _ZN9rocsparseL23check_matrix_csr_deviceILj256ELj16E21rocsparse_complex_numIdEliEEvT3_S3_T2_PKT1_PKS4_PKS3_SB_21rocsparse_index_base_22rocsparse_matrix_type_20rocsparse_fill_mode_23rocsparse_storage_mode_P22rocsparse_data_status_.num_vgpr, 20
	.set _ZN9rocsparseL23check_matrix_csr_deviceILj256ELj16E21rocsparse_complex_numIdEliEEvT3_S3_T2_PKT1_PKS4_PKS3_SB_21rocsparse_index_base_22rocsparse_matrix_type_20rocsparse_fill_mode_23rocsparse_storage_mode_P22rocsparse_data_status_.num_agpr, 0
	.set _ZN9rocsparseL23check_matrix_csr_deviceILj256ELj16E21rocsparse_complex_numIdEliEEvT3_S3_T2_PKT1_PKS4_PKS3_SB_21rocsparse_index_base_22rocsparse_matrix_type_20rocsparse_fill_mode_23rocsparse_storage_mode_P22rocsparse_data_status_.numbered_sgpr, 48
	.set _ZN9rocsparseL23check_matrix_csr_deviceILj256ELj16E21rocsparse_complex_numIdEliEEvT3_S3_T2_PKT1_PKS4_PKS3_SB_21rocsparse_index_base_22rocsparse_matrix_type_20rocsparse_fill_mode_23rocsparse_storage_mode_P22rocsparse_data_status_.num_named_barrier, 0
	.set _ZN9rocsparseL23check_matrix_csr_deviceILj256ELj16E21rocsparse_complex_numIdEliEEvT3_S3_T2_PKT1_PKS4_PKS3_SB_21rocsparse_index_base_22rocsparse_matrix_type_20rocsparse_fill_mode_23rocsparse_storage_mode_P22rocsparse_data_status_.private_seg_size, 0
	.set _ZN9rocsparseL23check_matrix_csr_deviceILj256ELj16E21rocsparse_complex_numIdEliEEvT3_S3_T2_PKT1_PKS4_PKS3_SB_21rocsparse_index_base_22rocsparse_matrix_type_20rocsparse_fill_mode_23rocsparse_storage_mode_P22rocsparse_data_status_.uses_vcc, 1
	.set _ZN9rocsparseL23check_matrix_csr_deviceILj256ELj16E21rocsparse_complex_numIdEliEEvT3_S3_T2_PKT1_PKS4_PKS3_SB_21rocsparse_index_base_22rocsparse_matrix_type_20rocsparse_fill_mode_23rocsparse_storage_mode_P22rocsparse_data_status_.uses_flat_scratch, 0
	.set _ZN9rocsparseL23check_matrix_csr_deviceILj256ELj16E21rocsparse_complex_numIdEliEEvT3_S3_T2_PKT1_PKS4_PKS3_SB_21rocsparse_index_base_22rocsparse_matrix_type_20rocsparse_fill_mode_23rocsparse_storage_mode_P22rocsparse_data_status_.has_dyn_sized_stack, 0
	.set _ZN9rocsparseL23check_matrix_csr_deviceILj256ELj16E21rocsparse_complex_numIdEliEEvT3_S3_T2_PKT1_PKS4_PKS3_SB_21rocsparse_index_base_22rocsparse_matrix_type_20rocsparse_fill_mode_23rocsparse_storage_mode_P22rocsparse_data_status_.has_recursion, 0
	.set _ZN9rocsparseL23check_matrix_csr_deviceILj256ELj16E21rocsparse_complex_numIdEliEEvT3_S3_T2_PKT1_PKS4_PKS3_SB_21rocsparse_index_base_22rocsparse_matrix_type_20rocsparse_fill_mode_23rocsparse_storage_mode_P22rocsparse_data_status_.has_indirect_call, 0
	.section	.AMDGPU.csdata,"",@progbits
; Kernel info:
; codeLenInByte = 936
; TotalNumSgprs: 52
; NumVgprs: 20
; ScratchSize: 0
; MemoryBound: 0
; FloatMode: 240
; IeeeMode: 1
; LDSByteSize: 0 bytes/workgroup (compile time only)
; SGPRBlocks: 6
; VGPRBlocks: 4
; NumSGPRsForWavesPerEU: 52
; NumVGPRsForWavesPerEU: 20
; Occupancy: 10
; WaveLimiterHint : 0
; COMPUTE_PGM_RSRC2:SCRATCH_EN: 0
; COMPUTE_PGM_RSRC2:USER_SGPR: 6
; COMPUTE_PGM_RSRC2:TRAP_HANDLER: 0
; COMPUTE_PGM_RSRC2:TGID_X_EN: 1
; COMPUTE_PGM_RSRC2:TGID_Y_EN: 0
; COMPUTE_PGM_RSRC2:TGID_Z_EN: 0
; COMPUTE_PGM_RSRC2:TIDIG_COMP_CNT: 0
	.section	.text._ZN9rocsparseL23check_matrix_csr_deviceILj256ELj32E21rocsparse_complex_numIdEliEEvT3_S3_T2_PKT1_PKS4_PKS3_SB_21rocsparse_index_base_22rocsparse_matrix_type_20rocsparse_fill_mode_23rocsparse_storage_mode_P22rocsparse_data_status_,"axG",@progbits,_ZN9rocsparseL23check_matrix_csr_deviceILj256ELj32E21rocsparse_complex_numIdEliEEvT3_S3_T2_PKT1_PKS4_PKS3_SB_21rocsparse_index_base_22rocsparse_matrix_type_20rocsparse_fill_mode_23rocsparse_storage_mode_P22rocsparse_data_status_,comdat
	.globl	_ZN9rocsparseL23check_matrix_csr_deviceILj256ELj32E21rocsparse_complex_numIdEliEEvT3_S3_T2_PKT1_PKS4_PKS3_SB_21rocsparse_index_base_22rocsparse_matrix_type_20rocsparse_fill_mode_23rocsparse_storage_mode_P22rocsparse_data_status_ ; -- Begin function _ZN9rocsparseL23check_matrix_csr_deviceILj256ELj32E21rocsparse_complex_numIdEliEEvT3_S3_T2_PKT1_PKS4_PKS3_SB_21rocsparse_index_base_22rocsparse_matrix_type_20rocsparse_fill_mode_23rocsparse_storage_mode_P22rocsparse_data_status_
	.p2align	8
	.type	_ZN9rocsparseL23check_matrix_csr_deviceILj256ELj32E21rocsparse_complex_numIdEliEEvT3_S3_T2_PKT1_PKS4_PKS3_SB_21rocsparse_index_base_22rocsparse_matrix_type_20rocsparse_fill_mode_23rocsparse_storage_mode_P22rocsparse_data_status_,@function
_ZN9rocsparseL23check_matrix_csr_deviceILj256ELj32E21rocsparse_complex_numIdEliEEvT3_S3_T2_PKT1_PKS4_PKS3_SB_21rocsparse_index_base_22rocsparse_matrix_type_20rocsparse_fill_mode_23rocsparse_storage_mode_P22rocsparse_data_status_: ; @_ZN9rocsparseL23check_matrix_csr_deviceILj256ELj32E21rocsparse_complex_numIdEliEEvT3_S3_T2_PKT1_PKS4_PKS3_SB_21rocsparse_index_base_22rocsparse_matrix_type_20rocsparse_fill_mode_23rocsparse_storage_mode_P22rocsparse_data_status_
; %bb.0:
	s_load_dwordx2 s[16:17], s[4:5], 0x0
	v_lshl_or_b32 v1, s6, 8, v0
	v_lshrrev_b32_e32 v16, 5, v1
	s_waitcnt lgkmcnt(0)
	v_cmp_gt_i32_e32 vcc, s16, v16
	s_and_saveexec_b64 s[0:1], vcc
	s_cbranch_execz .LBB56_31
; %bb.1:
	s_load_dwordx2 s[0:1], s[4:5], 0x18
	v_lshlrev_b32_e32 v1, 3, v16
	v_mov_b32_e32 v17, 3
	s_mov_b64 s[10:11], -1
	s_mov_b64 s[8:9], 0
	s_waitcnt lgkmcnt(0)
	global_load_dwordx4 v[8:11], v1, s[0:1]
	s_load_dwordx2 s[0:1], s[0:1], 0x0
	s_waitcnt lgkmcnt(0)
	v_mov_b32_e32 v1, s1
	s_waitcnt vmcnt(0)
	v_subrev_co_u32_e32 v4, vcc, s0, v8
	v_subb_co_u32_e32 v5, vcc, v9, v1, vcc
	v_subrev_co_u32_e32 v6, vcc, s0, v10
	v_subb_co_u32_e32 v7, vcc, v11, v1, vcc
	v_cmp_gt_i64_e64 s[0:1], 0, v[6:7]
	v_cmp_lt_i64_e64 s[2:3], v[10:11], v[8:9]
	v_cmp_lt_i64_e32 vcc, -1, v[4:5]
	s_or_b64 s[0:1], s[0:1], s[2:3]
	s_xor_b64 s[0:1], s[0:1], -1
	s_and_b64 s[0:1], vcc, s[0:1]
	s_and_saveexec_b64 s[6:7], s[0:1]
	s_cbranch_execz .LBB56_29
; %bb.2:
	v_and_b32_e32 v0, 31, v0
	v_add_co_u32_e32 v8, vcc, v4, v0
	v_addc_co_u32_e32 v9, vcc, 0, v5, vcc
	v_cmp_lt_u64_e32 vcc, v[8:9], v[6:7]
	v_mov_b32_e32 v17, 3
	s_and_saveexec_b64 s[18:19], vcc
	s_cbranch_execz .LBB56_28
; %bb.3:
	s_load_dwordx8 s[8:15], s[4:5], 0x20
	s_load_dwordx2 s[0:1], s[4:5], 0x10
	v_lshlrev_b64 v[0:1], 2, v[8:9]
                                        ; implicit-def: $sgpr24_sgpr25
                                        ; implicit-def: $sgpr26_sgpr27
                                        ; implicit-def: $sgpr28_sgpr29
	v_add_co_u32_e32 v0, vcc, -4, v0
	v_addc_co_u32_e32 v1, vcc, -1, v1, vcc
	s_waitcnt lgkmcnt(0)
	v_mov_b32_e32 v2, s11
	v_add_co_u32_e32 v10, vcc, s10, v0
	v_addc_co_u32_e32 v11, vcc, v2, v1, vcc
	v_mov_b32_e32 v2, s9
	v_add_co_u32_e32 v12, vcc, s8, v0
	v_addc_co_u32_e32 v13, vcc, v2, v1, vcc
	v_lshlrev_b64 v[0:1], 4, v[8:9]
	s_cmp_lg_u32 s13, 0
	v_mov_b32_e32 v2, s1
	v_add_co_u32_e32 v0, vcc, s0, v0
	s_cselect_b64 s[20:21], -1, 0
	s_cmp_lg_u32 s14, 0
	v_addc_co_u32_e32 v1, vcc, v2, v1, vcc
	s_cselect_b64 s[22:23], -1, 0
	s_cmp_lg_u32 s15, 0
	v_add_co_u32_e32 v14, vcc, 8, v0
	s_mov_b32 s10, 0
	s_cselect_b64 s[14:15], -1, 0
	v_addc_co_u32_e32 v15, vcc, 0, v1, vcc
	s_mov_b32 s11, 0x7ff00000
	s_mov_b64 s[8:9], 0
	s_branch .LBB56_10
.LBB56_4:                               ;   in Loop: Header=BB56_10 Depth=1
	s_or_b64 exec, exec, s[0:1]
	s_orn2_b64 s[44:45], s[2:3], exec
	s_orn2_b64 s[0:1], s[40:41], exec
.LBB56_5:                               ;   in Loop: Header=BB56_10 Depth=1
	s_or_b64 exec, exec, s[42:43]
	s_orn2_b64 s[2:3], s[44:45], exec
	s_orn2_b64 s[0:1], s[0:1], exec
.LBB56_6:                               ;   in Loop: Header=BB56_10 Depth=1
	s_or_b64 exec, exec, s[38:39]
	s_orn2_b64 s[38:39], s[2:3], exec
	s_orn2_b64 s[2:3], s[0:1], exec
.LBB56_7:                               ;   in Loop: Header=BB56_10 Depth=1
	s_or_b64 exec, exec, s[36:37]
	s_orn2_b64 s[36:37], s[38:39], exec
	s_orn2_b64 s[0:1], s[2:3], exec
.LBB56_8:                               ;   in Loop: Header=BB56_10 Depth=1
	s_or_b64 exec, exec, s[34:35]
	s_andn2_b64 s[2:3], s[28:29], exec
	s_and_b64 s[28:29], s[36:37], exec
	s_or_b64 s[28:29], s[2:3], s[28:29]
	s_andn2_b64 s[2:3], s[26:27], exec
	s_and_b64 s[0:1], s[0:1], exec
	s_or_b64 s[26:27], s[2:3], s[0:1]
.LBB56_9:                               ;   in Loop: Header=BB56_10 Depth=1
	s_or_b64 exec, exec, s[30:31]
	s_and_b64 s[0:1], exec, s[26:27]
	s_or_b64 s[8:9], s[0:1], s[8:9]
	s_andn2_b64 s[0:1], s[24:25], exec
	s_and_b64 s[2:3], s[28:29], exec
	s_or_b64 s[24:25], s[0:1], s[2:3]
	s_andn2_b64 exec, exec, s[8:9]
	s_cbranch_execz .LBB56_27
.LBB56_10:                              ; =>This Inner Loop Header: Depth=1
	global_load_dword v18, v[12:13], off offset:4
	v_mov_b32_e32 v17, 4
	s_or_b64 s[28:29], s[28:29], exec
	s_or_b64 s[26:27], s[26:27], exec
	s_waitcnt vmcnt(0)
	v_subrev_u32_e32 v19, s12, v18
	v_cmp_lt_i32_e32 vcc, -1, v19
	v_cmp_gt_i32_e64 s[0:1], s17, v19
	s_and_b64 s[0:1], vcc, s[0:1]
	s_and_saveexec_b64 s[30:31], s[0:1]
	s_cbranch_execz .LBB56_9
; %bb.11:                               ;   in Loop: Header=BB56_10 Depth=1
	v_cmp_le_i64_e64 s[40:41], v[8:9], v[4:5]
	v_cmp_gt_i64_e32 vcc, v[8:9], v[4:5]
	v_mov_b32_e32 v17, 4
	s_mov_b64 s[2:3], s[40:41]
	s_and_saveexec_b64 s[34:35], vcc
	s_cbranch_execz .LBB56_13
; %bb.12:                               ;   in Loop: Header=BB56_10 Depth=1
	global_load_dwordx2 v[0:1], v[10:11], off
	v_mov_b32_e32 v17, 5
	s_waitcnt vmcnt(0)
	v_subrev_u32_e32 v2, s12, v0
	v_cmp_lt_i32_e64 s[0:1], -1, v2
	v_cmp_gt_i32_e64 s[2:3], s17, v2
	s_and_b64 s[0:1], s[0:1], s[2:3]
	v_cmp_ne_u32_e32 vcc, v1, v0
	s_xor_b64 s[0:1], s[0:1], -1
	s_or_b64 s[0:1], vcc, s[0:1]
	s_andn2_b64 s[2:3], s[40:41], exec
	s_and_b64 s[0:1], s[0:1], exec
	s_or_b64 s[2:3], s[2:3], s[0:1]
.LBB56_13:                              ;   in Loop: Header=BB56_10 Depth=1
	s_or_b64 exec, exec, s[34:35]
	s_mov_b64 s[0:1], -1
	s_mov_b64 s[36:37], -1
	s_and_saveexec_b64 s[34:35], s[2:3]
	s_cbranch_execz .LBB56_8
; %bb.14:                               ;   in Loop: Header=BB56_10 Depth=1
	global_load_dwordx4 v[0:3], v[14:15], off offset:-8
	v_mov_b32_e32 v17, 1
	s_mov_b64 s[2:3], -1
	s_mov_b64 s[38:39], -1
	s_waitcnt vmcnt(0)
	v_cmp_neq_f64_e32 vcc, s[10:11], v[0:1]
	v_cmp_neq_f64_e64 s[0:1], s[10:11], v[2:3]
	s_and_b64 s[0:1], vcc, s[0:1]
	s_and_saveexec_b64 s[36:37], s[0:1]
	s_cbranch_execz .LBB56_7
; %bb.15:                               ;   in Loop: Header=BB56_10 Depth=1
	v_cmp_o_f64_e32 vcc, v[0:1], v[2:3]
	v_mov_b32_e32 v17, 2
	s_mov_b64 s[0:1], -1
	s_and_saveexec_b64 s[38:39], vcc
	s_cbranch_execz .LBB56_6
; %bb.16:                               ;   in Loop: Header=BB56_10 Depth=1
	s_and_b64 vcc, exec, s[20:21]
	s_cbranch_vccz .LBB56_19
; %bb.17:                               ;   in Loop: Header=BB56_10 Depth=1
	s_and_b64 vcc, exec, s[22:23]
	s_cbranch_vccz .LBB56_20
; %bb.18:                               ;   in Loop: Header=BB56_10 Depth=1
	v_cmp_le_i32_e32 vcc, v16, v19
	s_mov_b32 s13, 7
	s_and_b64 s[2:3], vcc, exec
	s_cbranch_execz .LBB56_21
	s_branch .LBB56_22
.LBB56_19:                              ;   in Loop: Header=BB56_10 Depth=1
	s_mov_b32 s13, 2
	s_branch .LBB56_22
.LBB56_20:                              ;   in Loop: Header=BB56_10 Depth=1
	s_mov_b64 s[2:3], 0
	s_mov_b32 s13, 2
.LBB56_21:                              ;   in Loop: Header=BB56_10 Depth=1
	v_cmp_ge_i32_e32 vcc, v16, v19
	s_andn2_b64 s[2:3], s[2:3], exec
	s_and_b64 s[42:43], vcc, exec
	s_mov_b32 s13, 7
	s_or_b64 s[2:3], s[2:3], s[42:43]
.LBB56_22:                              ;   in Loop: Header=BB56_10 Depth=1
	v_mov_b32_e32 v17, s13
	s_mov_b64 s[44:45], -1
	s_and_saveexec_b64 s[42:43], s[2:3]
	s_cbranch_execz .LBB56_5
; %bb.23:                               ;   in Loop: Header=BB56_10 Depth=1
	s_nor_b64 s[0:1], s[14:15], s[40:41]
	s_mov_b64 s[40:41], -1
	v_mov_b32_e32 v17, s13
	s_and_saveexec_b64 s[46:47], s[0:1]
	s_cbranch_execz .LBB56_25
; %bb.24:                               ;   in Loop: Header=BB56_10 Depth=1
	global_load_dword v0, v[12:13], off
	v_mov_b32_e32 v17, 6
	s_waitcnt vmcnt(0)
	v_subrev_u32_e32 v1, s12, v0
	v_cmp_lt_i32_e64 s[0:1], -1, v1
	v_cmp_gt_i32_e64 s[2:3], s17, v1
	s_and_b64 s[0:1], s[0:1], s[2:3]
	v_cmp_gt_i32_e32 vcc, v18, v0
	s_xor_b64 s[0:1], s[0:1], -1
	s_or_b64 s[0:1], vcc, s[0:1]
	s_orn2_b64 s[44:45], s[0:1], exec
.LBB56_25:                              ;   in Loop: Header=BB56_10 Depth=1
	s_or_b64 exec, exec, s[46:47]
	s_mov_b64 s[2:3], -1
	s_and_saveexec_b64 s[0:1], s[44:45]
	s_cbranch_execz .LBB56_4
; %bb.26:                               ;   in Loop: Header=BB56_10 Depth=1
	v_add_co_u32_e32 v8, vcc, 32, v8
	v_addc_co_u32_e32 v9, vcc, 0, v9, vcc
	v_add_co_u32_e32 v10, vcc, 0x80, v10
	v_addc_co_u32_e32 v11, vcc, 0, v11, vcc
	;; [unrolled: 2-line block ×4, first 2 shown]
	v_cmp_ge_i64_e32 vcc, v[8:9], v[6:7]
	s_xor_b64 s[2:3], exec, -1
	s_orn2_b64 s[40:41], vcc, exec
	s_branch .LBB56_4
.LBB56_27:
	s_or_b64 exec, exec, s[8:9]
	s_and_b64 s[8:9], s[24:25], exec
.LBB56_28:
	s_or_b64 exec, exec, s[18:19]
	s_orn2_b64 s[10:11], s[8:9], exec
.LBB56_29:
	s_or_b64 exec, exec, s[6:7]
	s_and_b64 exec, exec, s[10:11]
	s_cbranch_execz .LBB56_31
; %bb.30:
	s_load_dwordx2 s[0:1], s[4:5], 0x40
	v_mov_b32_e32 v0, 0
	s_waitcnt lgkmcnt(0)
	global_store_dword v0, v17, s[0:1]
.LBB56_31:
	s_endpgm
	.section	.rodata,"a",@progbits
	.p2align	6, 0x0
	.amdhsa_kernel _ZN9rocsparseL23check_matrix_csr_deviceILj256ELj32E21rocsparse_complex_numIdEliEEvT3_S3_T2_PKT1_PKS4_PKS3_SB_21rocsparse_index_base_22rocsparse_matrix_type_20rocsparse_fill_mode_23rocsparse_storage_mode_P22rocsparse_data_status_
		.amdhsa_group_segment_fixed_size 0
		.amdhsa_private_segment_fixed_size 0
		.amdhsa_kernarg_size 72
		.amdhsa_user_sgpr_count 6
		.amdhsa_user_sgpr_private_segment_buffer 1
		.amdhsa_user_sgpr_dispatch_ptr 0
		.amdhsa_user_sgpr_queue_ptr 0
		.amdhsa_user_sgpr_kernarg_segment_ptr 1
		.amdhsa_user_sgpr_dispatch_id 0
		.amdhsa_user_sgpr_flat_scratch_init 0
		.amdhsa_user_sgpr_private_segment_size 0
		.amdhsa_uses_dynamic_stack 0
		.amdhsa_system_sgpr_private_segment_wavefront_offset 0
		.amdhsa_system_sgpr_workgroup_id_x 1
		.amdhsa_system_sgpr_workgroup_id_y 0
		.amdhsa_system_sgpr_workgroup_id_z 0
		.amdhsa_system_sgpr_workgroup_info 0
		.amdhsa_system_vgpr_workitem_id 0
		.amdhsa_next_free_vgpr 20
		.amdhsa_next_free_sgpr 48
		.amdhsa_reserve_vcc 1
		.amdhsa_reserve_flat_scratch 0
		.amdhsa_float_round_mode_32 0
		.amdhsa_float_round_mode_16_64 0
		.amdhsa_float_denorm_mode_32 3
		.amdhsa_float_denorm_mode_16_64 3
		.amdhsa_dx10_clamp 1
		.amdhsa_ieee_mode 1
		.amdhsa_fp16_overflow 0
		.amdhsa_exception_fp_ieee_invalid_op 0
		.amdhsa_exception_fp_denorm_src 0
		.amdhsa_exception_fp_ieee_div_zero 0
		.amdhsa_exception_fp_ieee_overflow 0
		.amdhsa_exception_fp_ieee_underflow 0
		.amdhsa_exception_fp_ieee_inexact 0
		.amdhsa_exception_int_div_zero 0
	.end_amdhsa_kernel
	.section	.text._ZN9rocsparseL23check_matrix_csr_deviceILj256ELj32E21rocsparse_complex_numIdEliEEvT3_S3_T2_PKT1_PKS4_PKS3_SB_21rocsparse_index_base_22rocsparse_matrix_type_20rocsparse_fill_mode_23rocsparse_storage_mode_P22rocsparse_data_status_,"axG",@progbits,_ZN9rocsparseL23check_matrix_csr_deviceILj256ELj32E21rocsparse_complex_numIdEliEEvT3_S3_T2_PKT1_PKS4_PKS3_SB_21rocsparse_index_base_22rocsparse_matrix_type_20rocsparse_fill_mode_23rocsparse_storage_mode_P22rocsparse_data_status_,comdat
.Lfunc_end56:
	.size	_ZN9rocsparseL23check_matrix_csr_deviceILj256ELj32E21rocsparse_complex_numIdEliEEvT3_S3_T2_PKT1_PKS4_PKS3_SB_21rocsparse_index_base_22rocsparse_matrix_type_20rocsparse_fill_mode_23rocsparse_storage_mode_P22rocsparse_data_status_, .Lfunc_end56-_ZN9rocsparseL23check_matrix_csr_deviceILj256ELj32E21rocsparse_complex_numIdEliEEvT3_S3_T2_PKT1_PKS4_PKS3_SB_21rocsparse_index_base_22rocsparse_matrix_type_20rocsparse_fill_mode_23rocsparse_storage_mode_P22rocsparse_data_status_
                                        ; -- End function
	.set _ZN9rocsparseL23check_matrix_csr_deviceILj256ELj32E21rocsparse_complex_numIdEliEEvT3_S3_T2_PKT1_PKS4_PKS3_SB_21rocsparse_index_base_22rocsparse_matrix_type_20rocsparse_fill_mode_23rocsparse_storage_mode_P22rocsparse_data_status_.num_vgpr, 20
	.set _ZN9rocsparseL23check_matrix_csr_deviceILj256ELj32E21rocsparse_complex_numIdEliEEvT3_S3_T2_PKT1_PKS4_PKS3_SB_21rocsparse_index_base_22rocsparse_matrix_type_20rocsparse_fill_mode_23rocsparse_storage_mode_P22rocsparse_data_status_.num_agpr, 0
	.set _ZN9rocsparseL23check_matrix_csr_deviceILj256ELj32E21rocsparse_complex_numIdEliEEvT3_S3_T2_PKT1_PKS4_PKS3_SB_21rocsparse_index_base_22rocsparse_matrix_type_20rocsparse_fill_mode_23rocsparse_storage_mode_P22rocsparse_data_status_.numbered_sgpr, 48
	.set _ZN9rocsparseL23check_matrix_csr_deviceILj256ELj32E21rocsparse_complex_numIdEliEEvT3_S3_T2_PKT1_PKS4_PKS3_SB_21rocsparse_index_base_22rocsparse_matrix_type_20rocsparse_fill_mode_23rocsparse_storage_mode_P22rocsparse_data_status_.num_named_barrier, 0
	.set _ZN9rocsparseL23check_matrix_csr_deviceILj256ELj32E21rocsparse_complex_numIdEliEEvT3_S3_T2_PKT1_PKS4_PKS3_SB_21rocsparse_index_base_22rocsparse_matrix_type_20rocsparse_fill_mode_23rocsparse_storage_mode_P22rocsparse_data_status_.private_seg_size, 0
	.set _ZN9rocsparseL23check_matrix_csr_deviceILj256ELj32E21rocsparse_complex_numIdEliEEvT3_S3_T2_PKT1_PKS4_PKS3_SB_21rocsparse_index_base_22rocsparse_matrix_type_20rocsparse_fill_mode_23rocsparse_storage_mode_P22rocsparse_data_status_.uses_vcc, 1
	.set _ZN9rocsparseL23check_matrix_csr_deviceILj256ELj32E21rocsparse_complex_numIdEliEEvT3_S3_T2_PKT1_PKS4_PKS3_SB_21rocsparse_index_base_22rocsparse_matrix_type_20rocsparse_fill_mode_23rocsparse_storage_mode_P22rocsparse_data_status_.uses_flat_scratch, 0
	.set _ZN9rocsparseL23check_matrix_csr_deviceILj256ELj32E21rocsparse_complex_numIdEliEEvT3_S3_T2_PKT1_PKS4_PKS3_SB_21rocsparse_index_base_22rocsparse_matrix_type_20rocsparse_fill_mode_23rocsparse_storage_mode_P22rocsparse_data_status_.has_dyn_sized_stack, 0
	.set _ZN9rocsparseL23check_matrix_csr_deviceILj256ELj32E21rocsparse_complex_numIdEliEEvT3_S3_T2_PKT1_PKS4_PKS3_SB_21rocsparse_index_base_22rocsparse_matrix_type_20rocsparse_fill_mode_23rocsparse_storage_mode_P22rocsparse_data_status_.has_recursion, 0
	.set _ZN9rocsparseL23check_matrix_csr_deviceILj256ELj32E21rocsparse_complex_numIdEliEEvT3_S3_T2_PKT1_PKS4_PKS3_SB_21rocsparse_index_base_22rocsparse_matrix_type_20rocsparse_fill_mode_23rocsparse_storage_mode_P22rocsparse_data_status_.has_indirect_call, 0
	.section	.AMDGPU.csdata,"",@progbits
; Kernel info:
; codeLenInByte = 944
; TotalNumSgprs: 52
; NumVgprs: 20
; ScratchSize: 0
; MemoryBound: 0
; FloatMode: 240
; IeeeMode: 1
; LDSByteSize: 0 bytes/workgroup (compile time only)
; SGPRBlocks: 6
; VGPRBlocks: 4
; NumSGPRsForWavesPerEU: 52
; NumVGPRsForWavesPerEU: 20
; Occupancy: 10
; WaveLimiterHint : 0
; COMPUTE_PGM_RSRC2:SCRATCH_EN: 0
; COMPUTE_PGM_RSRC2:USER_SGPR: 6
; COMPUTE_PGM_RSRC2:TRAP_HANDLER: 0
; COMPUTE_PGM_RSRC2:TGID_X_EN: 1
; COMPUTE_PGM_RSRC2:TGID_Y_EN: 0
; COMPUTE_PGM_RSRC2:TGID_Z_EN: 0
; COMPUTE_PGM_RSRC2:TIDIG_COMP_CNT: 0
	.section	.text._ZN9rocsparseL23check_matrix_csr_deviceILj256ELj64E21rocsparse_complex_numIdEliEEvT3_S3_T2_PKT1_PKS4_PKS3_SB_21rocsparse_index_base_22rocsparse_matrix_type_20rocsparse_fill_mode_23rocsparse_storage_mode_P22rocsparse_data_status_,"axG",@progbits,_ZN9rocsparseL23check_matrix_csr_deviceILj256ELj64E21rocsparse_complex_numIdEliEEvT3_S3_T2_PKT1_PKS4_PKS3_SB_21rocsparse_index_base_22rocsparse_matrix_type_20rocsparse_fill_mode_23rocsparse_storage_mode_P22rocsparse_data_status_,comdat
	.globl	_ZN9rocsparseL23check_matrix_csr_deviceILj256ELj64E21rocsparse_complex_numIdEliEEvT3_S3_T2_PKT1_PKS4_PKS3_SB_21rocsparse_index_base_22rocsparse_matrix_type_20rocsparse_fill_mode_23rocsparse_storage_mode_P22rocsparse_data_status_ ; -- Begin function _ZN9rocsparseL23check_matrix_csr_deviceILj256ELj64E21rocsparse_complex_numIdEliEEvT3_S3_T2_PKT1_PKS4_PKS3_SB_21rocsparse_index_base_22rocsparse_matrix_type_20rocsparse_fill_mode_23rocsparse_storage_mode_P22rocsparse_data_status_
	.p2align	8
	.type	_ZN9rocsparseL23check_matrix_csr_deviceILj256ELj64E21rocsparse_complex_numIdEliEEvT3_S3_T2_PKT1_PKS4_PKS3_SB_21rocsparse_index_base_22rocsparse_matrix_type_20rocsparse_fill_mode_23rocsparse_storage_mode_P22rocsparse_data_status_,@function
_ZN9rocsparseL23check_matrix_csr_deviceILj256ELj64E21rocsparse_complex_numIdEliEEvT3_S3_T2_PKT1_PKS4_PKS3_SB_21rocsparse_index_base_22rocsparse_matrix_type_20rocsparse_fill_mode_23rocsparse_storage_mode_P22rocsparse_data_status_: ; @_ZN9rocsparseL23check_matrix_csr_deviceILj256ELj64E21rocsparse_complex_numIdEliEEvT3_S3_T2_PKT1_PKS4_PKS3_SB_21rocsparse_index_base_22rocsparse_matrix_type_20rocsparse_fill_mode_23rocsparse_storage_mode_P22rocsparse_data_status_
; %bb.0:
	s_load_dwordx2 s[16:17], s[4:5], 0x0
	v_lshl_or_b32 v1, s6, 8, v0
	v_lshrrev_b32_e32 v16, 6, v1
	s_waitcnt lgkmcnt(0)
	v_cmp_gt_i32_e32 vcc, s16, v16
	s_and_saveexec_b64 s[0:1], vcc
	s_cbranch_execz .LBB57_31
; %bb.1:
	s_load_dwordx2 s[0:1], s[4:5], 0x18
	v_lshlrev_b32_e32 v1, 3, v16
	v_mov_b32_e32 v17, 3
	s_mov_b64 s[10:11], -1
	s_mov_b64 s[8:9], 0
	s_waitcnt lgkmcnt(0)
	global_load_dwordx4 v[8:11], v1, s[0:1]
	s_load_dwordx2 s[0:1], s[0:1], 0x0
	s_waitcnt lgkmcnt(0)
	v_mov_b32_e32 v1, s1
	s_waitcnt vmcnt(0)
	v_subrev_co_u32_e32 v4, vcc, s0, v8
	v_subb_co_u32_e32 v5, vcc, v9, v1, vcc
	v_subrev_co_u32_e32 v6, vcc, s0, v10
	v_subb_co_u32_e32 v7, vcc, v11, v1, vcc
	v_cmp_gt_i64_e64 s[0:1], 0, v[6:7]
	v_cmp_lt_i64_e64 s[2:3], v[10:11], v[8:9]
	v_cmp_lt_i64_e32 vcc, -1, v[4:5]
	s_or_b64 s[0:1], s[0:1], s[2:3]
	s_xor_b64 s[0:1], s[0:1], -1
	s_and_b64 s[0:1], vcc, s[0:1]
	s_and_saveexec_b64 s[6:7], s[0:1]
	s_cbranch_execz .LBB57_29
; %bb.2:
	v_and_b32_e32 v0, 63, v0
	v_add_co_u32_e32 v8, vcc, v4, v0
	v_addc_co_u32_e32 v9, vcc, 0, v5, vcc
	v_cmp_lt_u64_e32 vcc, v[8:9], v[6:7]
	v_mov_b32_e32 v17, 3
	s_and_saveexec_b64 s[18:19], vcc
	s_cbranch_execz .LBB57_28
; %bb.3:
	s_load_dwordx8 s[8:15], s[4:5], 0x20
	s_load_dwordx2 s[0:1], s[4:5], 0x10
	v_lshlrev_b64 v[0:1], 2, v[8:9]
                                        ; implicit-def: $sgpr24_sgpr25
                                        ; implicit-def: $sgpr26_sgpr27
                                        ; implicit-def: $sgpr28_sgpr29
	v_add_co_u32_e32 v0, vcc, -4, v0
	v_addc_co_u32_e32 v1, vcc, -1, v1, vcc
	s_waitcnt lgkmcnt(0)
	v_mov_b32_e32 v2, s11
	v_add_co_u32_e32 v10, vcc, s10, v0
	v_addc_co_u32_e32 v11, vcc, v2, v1, vcc
	v_mov_b32_e32 v2, s9
	v_add_co_u32_e32 v12, vcc, s8, v0
	v_addc_co_u32_e32 v13, vcc, v2, v1, vcc
	v_lshlrev_b64 v[0:1], 4, v[8:9]
	s_cmp_lg_u32 s13, 0
	v_mov_b32_e32 v2, s1
	v_add_co_u32_e32 v0, vcc, s0, v0
	s_cselect_b64 s[20:21], -1, 0
	s_cmp_lg_u32 s14, 0
	v_addc_co_u32_e32 v1, vcc, v2, v1, vcc
	s_cselect_b64 s[22:23], -1, 0
	s_cmp_lg_u32 s15, 0
	v_add_co_u32_e32 v14, vcc, 8, v0
	s_mov_b32 s10, 0
	s_cselect_b64 s[14:15], -1, 0
	v_addc_co_u32_e32 v15, vcc, 0, v1, vcc
	s_mov_b32 s11, 0x7ff00000
	s_mov_b64 s[8:9], 0
	s_branch .LBB57_10
.LBB57_4:                               ;   in Loop: Header=BB57_10 Depth=1
	s_or_b64 exec, exec, s[0:1]
	s_orn2_b64 s[44:45], s[2:3], exec
	s_orn2_b64 s[0:1], s[40:41], exec
.LBB57_5:                               ;   in Loop: Header=BB57_10 Depth=1
	s_or_b64 exec, exec, s[42:43]
	s_orn2_b64 s[2:3], s[44:45], exec
	s_orn2_b64 s[0:1], s[0:1], exec
.LBB57_6:                               ;   in Loop: Header=BB57_10 Depth=1
	s_or_b64 exec, exec, s[38:39]
	s_orn2_b64 s[38:39], s[2:3], exec
	s_orn2_b64 s[2:3], s[0:1], exec
.LBB57_7:                               ;   in Loop: Header=BB57_10 Depth=1
	s_or_b64 exec, exec, s[36:37]
	s_orn2_b64 s[36:37], s[38:39], exec
	s_orn2_b64 s[0:1], s[2:3], exec
.LBB57_8:                               ;   in Loop: Header=BB57_10 Depth=1
	s_or_b64 exec, exec, s[34:35]
	s_andn2_b64 s[2:3], s[28:29], exec
	s_and_b64 s[28:29], s[36:37], exec
	s_or_b64 s[28:29], s[2:3], s[28:29]
	s_andn2_b64 s[2:3], s[26:27], exec
	s_and_b64 s[0:1], s[0:1], exec
	s_or_b64 s[26:27], s[2:3], s[0:1]
.LBB57_9:                               ;   in Loop: Header=BB57_10 Depth=1
	s_or_b64 exec, exec, s[30:31]
	s_and_b64 s[0:1], exec, s[26:27]
	s_or_b64 s[8:9], s[0:1], s[8:9]
	s_andn2_b64 s[0:1], s[24:25], exec
	s_and_b64 s[2:3], s[28:29], exec
	s_or_b64 s[24:25], s[0:1], s[2:3]
	s_andn2_b64 exec, exec, s[8:9]
	s_cbranch_execz .LBB57_27
.LBB57_10:                              ; =>This Inner Loop Header: Depth=1
	global_load_dword v18, v[12:13], off offset:4
	v_mov_b32_e32 v17, 4
	s_or_b64 s[28:29], s[28:29], exec
	s_or_b64 s[26:27], s[26:27], exec
	s_waitcnt vmcnt(0)
	v_subrev_u32_e32 v19, s12, v18
	v_cmp_lt_i32_e32 vcc, -1, v19
	v_cmp_gt_i32_e64 s[0:1], s17, v19
	s_and_b64 s[0:1], vcc, s[0:1]
	s_and_saveexec_b64 s[30:31], s[0:1]
	s_cbranch_execz .LBB57_9
; %bb.11:                               ;   in Loop: Header=BB57_10 Depth=1
	v_cmp_le_i64_e64 s[40:41], v[8:9], v[4:5]
	v_cmp_gt_i64_e32 vcc, v[8:9], v[4:5]
	v_mov_b32_e32 v17, 4
	s_mov_b64 s[2:3], s[40:41]
	s_and_saveexec_b64 s[34:35], vcc
	s_cbranch_execz .LBB57_13
; %bb.12:                               ;   in Loop: Header=BB57_10 Depth=1
	global_load_dwordx2 v[0:1], v[10:11], off
	v_mov_b32_e32 v17, 5
	s_waitcnt vmcnt(0)
	v_subrev_u32_e32 v2, s12, v0
	v_cmp_lt_i32_e64 s[0:1], -1, v2
	v_cmp_gt_i32_e64 s[2:3], s17, v2
	s_and_b64 s[0:1], s[0:1], s[2:3]
	v_cmp_ne_u32_e32 vcc, v1, v0
	s_xor_b64 s[0:1], s[0:1], -1
	s_or_b64 s[0:1], vcc, s[0:1]
	s_andn2_b64 s[2:3], s[40:41], exec
	s_and_b64 s[0:1], s[0:1], exec
	s_or_b64 s[2:3], s[2:3], s[0:1]
.LBB57_13:                              ;   in Loop: Header=BB57_10 Depth=1
	s_or_b64 exec, exec, s[34:35]
	s_mov_b64 s[0:1], -1
	s_mov_b64 s[36:37], -1
	s_and_saveexec_b64 s[34:35], s[2:3]
	s_cbranch_execz .LBB57_8
; %bb.14:                               ;   in Loop: Header=BB57_10 Depth=1
	global_load_dwordx4 v[0:3], v[14:15], off offset:-8
	v_mov_b32_e32 v17, 1
	s_mov_b64 s[2:3], -1
	s_mov_b64 s[38:39], -1
	s_waitcnt vmcnt(0)
	v_cmp_neq_f64_e32 vcc, s[10:11], v[0:1]
	v_cmp_neq_f64_e64 s[0:1], s[10:11], v[2:3]
	s_and_b64 s[0:1], vcc, s[0:1]
	s_and_saveexec_b64 s[36:37], s[0:1]
	s_cbranch_execz .LBB57_7
; %bb.15:                               ;   in Loop: Header=BB57_10 Depth=1
	v_cmp_o_f64_e32 vcc, v[0:1], v[2:3]
	v_mov_b32_e32 v17, 2
	s_mov_b64 s[0:1], -1
	s_and_saveexec_b64 s[38:39], vcc
	s_cbranch_execz .LBB57_6
; %bb.16:                               ;   in Loop: Header=BB57_10 Depth=1
	s_and_b64 vcc, exec, s[20:21]
	s_cbranch_vccz .LBB57_19
; %bb.17:                               ;   in Loop: Header=BB57_10 Depth=1
	s_and_b64 vcc, exec, s[22:23]
	s_cbranch_vccz .LBB57_20
; %bb.18:                               ;   in Loop: Header=BB57_10 Depth=1
	v_cmp_le_i32_e32 vcc, v16, v19
	s_mov_b32 s13, 7
	s_and_b64 s[2:3], vcc, exec
	s_cbranch_execz .LBB57_21
	s_branch .LBB57_22
.LBB57_19:                              ;   in Loop: Header=BB57_10 Depth=1
	s_mov_b32 s13, 2
	s_branch .LBB57_22
.LBB57_20:                              ;   in Loop: Header=BB57_10 Depth=1
	s_mov_b64 s[2:3], 0
	s_mov_b32 s13, 2
.LBB57_21:                              ;   in Loop: Header=BB57_10 Depth=1
	v_cmp_ge_i32_e32 vcc, v16, v19
	s_andn2_b64 s[2:3], s[2:3], exec
	s_and_b64 s[42:43], vcc, exec
	s_mov_b32 s13, 7
	s_or_b64 s[2:3], s[2:3], s[42:43]
.LBB57_22:                              ;   in Loop: Header=BB57_10 Depth=1
	v_mov_b32_e32 v17, s13
	s_mov_b64 s[44:45], -1
	s_and_saveexec_b64 s[42:43], s[2:3]
	s_cbranch_execz .LBB57_5
; %bb.23:                               ;   in Loop: Header=BB57_10 Depth=1
	s_nor_b64 s[0:1], s[14:15], s[40:41]
	s_mov_b64 s[40:41], -1
	v_mov_b32_e32 v17, s13
	s_and_saveexec_b64 s[46:47], s[0:1]
	s_cbranch_execz .LBB57_25
; %bb.24:                               ;   in Loop: Header=BB57_10 Depth=1
	global_load_dword v0, v[12:13], off
	v_mov_b32_e32 v17, 6
	s_waitcnt vmcnt(0)
	v_subrev_u32_e32 v1, s12, v0
	v_cmp_lt_i32_e64 s[0:1], -1, v1
	v_cmp_gt_i32_e64 s[2:3], s17, v1
	s_and_b64 s[0:1], s[0:1], s[2:3]
	v_cmp_gt_i32_e32 vcc, v18, v0
	s_xor_b64 s[0:1], s[0:1], -1
	s_or_b64 s[0:1], vcc, s[0:1]
	s_orn2_b64 s[44:45], s[0:1], exec
.LBB57_25:                              ;   in Loop: Header=BB57_10 Depth=1
	s_or_b64 exec, exec, s[46:47]
	s_mov_b64 s[2:3], -1
	s_and_saveexec_b64 s[0:1], s[44:45]
	s_cbranch_execz .LBB57_4
; %bb.26:                               ;   in Loop: Header=BB57_10 Depth=1
	v_add_co_u32_e32 v8, vcc, 64, v8
	v_addc_co_u32_e32 v9, vcc, 0, v9, vcc
	v_add_co_u32_e32 v10, vcc, 0x100, v10
	v_addc_co_u32_e32 v11, vcc, 0, v11, vcc
	;; [unrolled: 2-line block ×4, first 2 shown]
	v_cmp_ge_i64_e32 vcc, v[8:9], v[6:7]
	s_xor_b64 s[2:3], exec, -1
	s_orn2_b64 s[40:41], vcc, exec
	s_branch .LBB57_4
.LBB57_27:
	s_or_b64 exec, exec, s[8:9]
	s_and_b64 s[8:9], s[24:25], exec
.LBB57_28:
	s_or_b64 exec, exec, s[18:19]
	s_orn2_b64 s[10:11], s[8:9], exec
.LBB57_29:
	s_or_b64 exec, exec, s[6:7]
	s_and_b64 exec, exec, s[10:11]
	s_cbranch_execz .LBB57_31
; %bb.30:
	s_load_dwordx2 s[0:1], s[4:5], 0x40
	v_mov_b32_e32 v0, 0
	s_waitcnt lgkmcnt(0)
	global_store_dword v0, v17, s[0:1]
.LBB57_31:
	s_endpgm
	.section	.rodata,"a",@progbits
	.p2align	6, 0x0
	.amdhsa_kernel _ZN9rocsparseL23check_matrix_csr_deviceILj256ELj64E21rocsparse_complex_numIdEliEEvT3_S3_T2_PKT1_PKS4_PKS3_SB_21rocsparse_index_base_22rocsparse_matrix_type_20rocsparse_fill_mode_23rocsparse_storage_mode_P22rocsparse_data_status_
		.amdhsa_group_segment_fixed_size 0
		.amdhsa_private_segment_fixed_size 0
		.amdhsa_kernarg_size 72
		.amdhsa_user_sgpr_count 6
		.amdhsa_user_sgpr_private_segment_buffer 1
		.amdhsa_user_sgpr_dispatch_ptr 0
		.amdhsa_user_sgpr_queue_ptr 0
		.amdhsa_user_sgpr_kernarg_segment_ptr 1
		.amdhsa_user_sgpr_dispatch_id 0
		.amdhsa_user_sgpr_flat_scratch_init 0
		.amdhsa_user_sgpr_private_segment_size 0
		.amdhsa_uses_dynamic_stack 0
		.amdhsa_system_sgpr_private_segment_wavefront_offset 0
		.amdhsa_system_sgpr_workgroup_id_x 1
		.amdhsa_system_sgpr_workgroup_id_y 0
		.amdhsa_system_sgpr_workgroup_id_z 0
		.amdhsa_system_sgpr_workgroup_info 0
		.amdhsa_system_vgpr_workitem_id 0
		.amdhsa_next_free_vgpr 20
		.amdhsa_next_free_sgpr 48
		.amdhsa_reserve_vcc 1
		.amdhsa_reserve_flat_scratch 0
		.amdhsa_float_round_mode_32 0
		.amdhsa_float_round_mode_16_64 0
		.amdhsa_float_denorm_mode_32 3
		.amdhsa_float_denorm_mode_16_64 3
		.amdhsa_dx10_clamp 1
		.amdhsa_ieee_mode 1
		.amdhsa_fp16_overflow 0
		.amdhsa_exception_fp_ieee_invalid_op 0
		.amdhsa_exception_fp_denorm_src 0
		.amdhsa_exception_fp_ieee_div_zero 0
		.amdhsa_exception_fp_ieee_overflow 0
		.amdhsa_exception_fp_ieee_underflow 0
		.amdhsa_exception_fp_ieee_inexact 0
		.amdhsa_exception_int_div_zero 0
	.end_amdhsa_kernel
	.section	.text._ZN9rocsparseL23check_matrix_csr_deviceILj256ELj64E21rocsparse_complex_numIdEliEEvT3_S3_T2_PKT1_PKS4_PKS3_SB_21rocsparse_index_base_22rocsparse_matrix_type_20rocsparse_fill_mode_23rocsparse_storage_mode_P22rocsparse_data_status_,"axG",@progbits,_ZN9rocsparseL23check_matrix_csr_deviceILj256ELj64E21rocsparse_complex_numIdEliEEvT3_S3_T2_PKT1_PKS4_PKS3_SB_21rocsparse_index_base_22rocsparse_matrix_type_20rocsparse_fill_mode_23rocsparse_storage_mode_P22rocsparse_data_status_,comdat
.Lfunc_end57:
	.size	_ZN9rocsparseL23check_matrix_csr_deviceILj256ELj64E21rocsparse_complex_numIdEliEEvT3_S3_T2_PKT1_PKS4_PKS3_SB_21rocsparse_index_base_22rocsparse_matrix_type_20rocsparse_fill_mode_23rocsparse_storage_mode_P22rocsparse_data_status_, .Lfunc_end57-_ZN9rocsparseL23check_matrix_csr_deviceILj256ELj64E21rocsparse_complex_numIdEliEEvT3_S3_T2_PKT1_PKS4_PKS3_SB_21rocsparse_index_base_22rocsparse_matrix_type_20rocsparse_fill_mode_23rocsparse_storage_mode_P22rocsparse_data_status_
                                        ; -- End function
	.set _ZN9rocsparseL23check_matrix_csr_deviceILj256ELj64E21rocsparse_complex_numIdEliEEvT3_S3_T2_PKT1_PKS4_PKS3_SB_21rocsparse_index_base_22rocsparse_matrix_type_20rocsparse_fill_mode_23rocsparse_storage_mode_P22rocsparse_data_status_.num_vgpr, 20
	.set _ZN9rocsparseL23check_matrix_csr_deviceILj256ELj64E21rocsparse_complex_numIdEliEEvT3_S3_T2_PKT1_PKS4_PKS3_SB_21rocsparse_index_base_22rocsparse_matrix_type_20rocsparse_fill_mode_23rocsparse_storage_mode_P22rocsparse_data_status_.num_agpr, 0
	.set _ZN9rocsparseL23check_matrix_csr_deviceILj256ELj64E21rocsparse_complex_numIdEliEEvT3_S3_T2_PKT1_PKS4_PKS3_SB_21rocsparse_index_base_22rocsparse_matrix_type_20rocsparse_fill_mode_23rocsparse_storage_mode_P22rocsparse_data_status_.numbered_sgpr, 48
	.set _ZN9rocsparseL23check_matrix_csr_deviceILj256ELj64E21rocsparse_complex_numIdEliEEvT3_S3_T2_PKT1_PKS4_PKS3_SB_21rocsparse_index_base_22rocsparse_matrix_type_20rocsparse_fill_mode_23rocsparse_storage_mode_P22rocsparse_data_status_.num_named_barrier, 0
	.set _ZN9rocsparseL23check_matrix_csr_deviceILj256ELj64E21rocsparse_complex_numIdEliEEvT3_S3_T2_PKT1_PKS4_PKS3_SB_21rocsparse_index_base_22rocsparse_matrix_type_20rocsparse_fill_mode_23rocsparse_storage_mode_P22rocsparse_data_status_.private_seg_size, 0
	.set _ZN9rocsparseL23check_matrix_csr_deviceILj256ELj64E21rocsparse_complex_numIdEliEEvT3_S3_T2_PKT1_PKS4_PKS3_SB_21rocsparse_index_base_22rocsparse_matrix_type_20rocsparse_fill_mode_23rocsparse_storage_mode_P22rocsparse_data_status_.uses_vcc, 1
	.set _ZN9rocsparseL23check_matrix_csr_deviceILj256ELj64E21rocsparse_complex_numIdEliEEvT3_S3_T2_PKT1_PKS4_PKS3_SB_21rocsparse_index_base_22rocsparse_matrix_type_20rocsparse_fill_mode_23rocsparse_storage_mode_P22rocsparse_data_status_.uses_flat_scratch, 0
	.set _ZN9rocsparseL23check_matrix_csr_deviceILj256ELj64E21rocsparse_complex_numIdEliEEvT3_S3_T2_PKT1_PKS4_PKS3_SB_21rocsparse_index_base_22rocsparse_matrix_type_20rocsparse_fill_mode_23rocsparse_storage_mode_P22rocsparse_data_status_.has_dyn_sized_stack, 0
	.set _ZN9rocsparseL23check_matrix_csr_deviceILj256ELj64E21rocsparse_complex_numIdEliEEvT3_S3_T2_PKT1_PKS4_PKS3_SB_21rocsparse_index_base_22rocsparse_matrix_type_20rocsparse_fill_mode_23rocsparse_storage_mode_P22rocsparse_data_status_.has_recursion, 0
	.set _ZN9rocsparseL23check_matrix_csr_deviceILj256ELj64E21rocsparse_complex_numIdEliEEvT3_S3_T2_PKT1_PKS4_PKS3_SB_21rocsparse_index_base_22rocsparse_matrix_type_20rocsparse_fill_mode_23rocsparse_storage_mode_P22rocsparse_data_status_.has_indirect_call, 0
	.section	.AMDGPU.csdata,"",@progbits
; Kernel info:
; codeLenInByte = 944
; TotalNumSgprs: 52
; NumVgprs: 20
; ScratchSize: 0
; MemoryBound: 0
; FloatMode: 240
; IeeeMode: 1
; LDSByteSize: 0 bytes/workgroup (compile time only)
; SGPRBlocks: 6
; VGPRBlocks: 4
; NumSGPRsForWavesPerEU: 52
; NumVGPRsForWavesPerEU: 20
; Occupancy: 10
; WaveLimiterHint : 0
; COMPUTE_PGM_RSRC2:SCRATCH_EN: 0
; COMPUTE_PGM_RSRC2:USER_SGPR: 6
; COMPUTE_PGM_RSRC2:TRAP_HANDLER: 0
; COMPUTE_PGM_RSRC2:TGID_X_EN: 1
; COMPUTE_PGM_RSRC2:TGID_Y_EN: 0
; COMPUTE_PGM_RSRC2:TGID_Z_EN: 0
; COMPUTE_PGM_RSRC2:TIDIG_COMP_CNT: 0
	.section	.text._ZN9rocsparseL23check_matrix_csr_deviceILj256ELj128E21rocsparse_complex_numIdEliEEvT3_S3_T2_PKT1_PKS4_PKS3_SB_21rocsparse_index_base_22rocsparse_matrix_type_20rocsparse_fill_mode_23rocsparse_storage_mode_P22rocsparse_data_status_,"axG",@progbits,_ZN9rocsparseL23check_matrix_csr_deviceILj256ELj128E21rocsparse_complex_numIdEliEEvT3_S3_T2_PKT1_PKS4_PKS3_SB_21rocsparse_index_base_22rocsparse_matrix_type_20rocsparse_fill_mode_23rocsparse_storage_mode_P22rocsparse_data_status_,comdat
	.globl	_ZN9rocsparseL23check_matrix_csr_deviceILj256ELj128E21rocsparse_complex_numIdEliEEvT3_S3_T2_PKT1_PKS4_PKS3_SB_21rocsparse_index_base_22rocsparse_matrix_type_20rocsparse_fill_mode_23rocsparse_storage_mode_P22rocsparse_data_status_ ; -- Begin function _ZN9rocsparseL23check_matrix_csr_deviceILj256ELj128E21rocsparse_complex_numIdEliEEvT3_S3_T2_PKT1_PKS4_PKS3_SB_21rocsparse_index_base_22rocsparse_matrix_type_20rocsparse_fill_mode_23rocsparse_storage_mode_P22rocsparse_data_status_
	.p2align	8
	.type	_ZN9rocsparseL23check_matrix_csr_deviceILj256ELj128E21rocsparse_complex_numIdEliEEvT3_S3_T2_PKT1_PKS4_PKS3_SB_21rocsparse_index_base_22rocsparse_matrix_type_20rocsparse_fill_mode_23rocsparse_storage_mode_P22rocsparse_data_status_,@function
_ZN9rocsparseL23check_matrix_csr_deviceILj256ELj128E21rocsparse_complex_numIdEliEEvT3_S3_T2_PKT1_PKS4_PKS3_SB_21rocsparse_index_base_22rocsparse_matrix_type_20rocsparse_fill_mode_23rocsparse_storage_mode_P22rocsparse_data_status_: ; @_ZN9rocsparseL23check_matrix_csr_deviceILj256ELj128E21rocsparse_complex_numIdEliEEvT3_S3_T2_PKT1_PKS4_PKS3_SB_21rocsparse_index_base_22rocsparse_matrix_type_20rocsparse_fill_mode_23rocsparse_storage_mode_P22rocsparse_data_status_
; %bb.0:
	s_load_dwordx2 s[16:17], s[4:5], 0x0
	v_lshl_or_b32 v1, s6, 8, v0
	v_lshrrev_b32_e32 v16, 7, v1
	s_waitcnt lgkmcnt(0)
	v_cmp_gt_i32_e32 vcc, s16, v16
	s_and_saveexec_b64 s[0:1], vcc
	s_cbranch_execz .LBB58_31
; %bb.1:
	s_load_dwordx2 s[0:1], s[4:5], 0x18
	v_lshlrev_b32_e32 v1, 3, v16
	v_mov_b32_e32 v17, 3
	s_mov_b64 s[10:11], -1
	s_mov_b64 s[8:9], 0
	s_waitcnt lgkmcnt(0)
	global_load_dwordx4 v[8:11], v1, s[0:1]
	s_load_dwordx2 s[0:1], s[0:1], 0x0
	s_waitcnt lgkmcnt(0)
	v_mov_b32_e32 v1, s1
	s_waitcnt vmcnt(0)
	v_subrev_co_u32_e32 v4, vcc, s0, v8
	v_subb_co_u32_e32 v5, vcc, v9, v1, vcc
	v_subrev_co_u32_e32 v6, vcc, s0, v10
	v_subb_co_u32_e32 v7, vcc, v11, v1, vcc
	v_cmp_gt_i64_e64 s[0:1], 0, v[6:7]
	v_cmp_lt_i64_e64 s[2:3], v[10:11], v[8:9]
	v_cmp_lt_i64_e32 vcc, -1, v[4:5]
	s_or_b64 s[0:1], s[0:1], s[2:3]
	s_xor_b64 s[0:1], s[0:1], -1
	s_and_b64 s[0:1], vcc, s[0:1]
	s_and_saveexec_b64 s[6:7], s[0:1]
	s_cbranch_execz .LBB58_29
; %bb.2:
	v_and_b32_e32 v0, 0x7f, v0
	v_add_co_u32_e32 v8, vcc, v4, v0
	v_addc_co_u32_e32 v9, vcc, 0, v5, vcc
	v_cmp_lt_u64_e32 vcc, v[8:9], v[6:7]
	v_mov_b32_e32 v17, 3
	s_and_saveexec_b64 s[18:19], vcc
	s_cbranch_execz .LBB58_28
; %bb.3:
	s_load_dwordx8 s[8:15], s[4:5], 0x20
	s_load_dwordx2 s[0:1], s[4:5], 0x10
	v_lshlrev_b64 v[0:1], 2, v[8:9]
                                        ; implicit-def: $sgpr24_sgpr25
                                        ; implicit-def: $sgpr26_sgpr27
                                        ; implicit-def: $sgpr28_sgpr29
	v_add_co_u32_e32 v0, vcc, -4, v0
	v_addc_co_u32_e32 v1, vcc, -1, v1, vcc
	s_waitcnt lgkmcnt(0)
	v_mov_b32_e32 v2, s11
	v_add_co_u32_e32 v10, vcc, s10, v0
	v_addc_co_u32_e32 v11, vcc, v2, v1, vcc
	v_mov_b32_e32 v2, s9
	v_add_co_u32_e32 v12, vcc, s8, v0
	v_addc_co_u32_e32 v13, vcc, v2, v1, vcc
	v_lshlrev_b64 v[0:1], 4, v[8:9]
	s_cmp_lg_u32 s13, 0
	v_mov_b32_e32 v2, s1
	v_add_co_u32_e32 v0, vcc, s0, v0
	s_cselect_b64 s[20:21], -1, 0
	s_cmp_lg_u32 s14, 0
	v_addc_co_u32_e32 v1, vcc, v2, v1, vcc
	s_cselect_b64 s[22:23], -1, 0
	s_cmp_lg_u32 s15, 0
	v_add_co_u32_e32 v14, vcc, 8, v0
	s_mov_b32 s10, 0
	s_cselect_b64 s[14:15], -1, 0
	v_addc_co_u32_e32 v15, vcc, 0, v1, vcc
	s_mov_b32 s11, 0x7ff00000
	s_mov_b64 s[8:9], 0
	s_branch .LBB58_10
.LBB58_4:                               ;   in Loop: Header=BB58_10 Depth=1
	s_or_b64 exec, exec, s[0:1]
	s_orn2_b64 s[44:45], s[2:3], exec
	s_orn2_b64 s[0:1], s[40:41], exec
.LBB58_5:                               ;   in Loop: Header=BB58_10 Depth=1
	s_or_b64 exec, exec, s[42:43]
	s_orn2_b64 s[2:3], s[44:45], exec
	s_orn2_b64 s[0:1], s[0:1], exec
.LBB58_6:                               ;   in Loop: Header=BB58_10 Depth=1
	s_or_b64 exec, exec, s[38:39]
	s_orn2_b64 s[38:39], s[2:3], exec
	s_orn2_b64 s[2:3], s[0:1], exec
.LBB58_7:                               ;   in Loop: Header=BB58_10 Depth=1
	s_or_b64 exec, exec, s[36:37]
	s_orn2_b64 s[36:37], s[38:39], exec
	s_orn2_b64 s[0:1], s[2:3], exec
.LBB58_8:                               ;   in Loop: Header=BB58_10 Depth=1
	s_or_b64 exec, exec, s[34:35]
	s_andn2_b64 s[2:3], s[28:29], exec
	s_and_b64 s[28:29], s[36:37], exec
	s_or_b64 s[28:29], s[2:3], s[28:29]
	s_andn2_b64 s[2:3], s[26:27], exec
	s_and_b64 s[0:1], s[0:1], exec
	s_or_b64 s[26:27], s[2:3], s[0:1]
.LBB58_9:                               ;   in Loop: Header=BB58_10 Depth=1
	s_or_b64 exec, exec, s[30:31]
	s_and_b64 s[0:1], exec, s[26:27]
	s_or_b64 s[8:9], s[0:1], s[8:9]
	s_andn2_b64 s[0:1], s[24:25], exec
	s_and_b64 s[2:3], s[28:29], exec
	s_or_b64 s[24:25], s[0:1], s[2:3]
	s_andn2_b64 exec, exec, s[8:9]
	s_cbranch_execz .LBB58_27
.LBB58_10:                              ; =>This Inner Loop Header: Depth=1
	global_load_dword v18, v[12:13], off offset:4
	v_mov_b32_e32 v17, 4
	s_or_b64 s[28:29], s[28:29], exec
	s_or_b64 s[26:27], s[26:27], exec
	s_waitcnt vmcnt(0)
	v_subrev_u32_e32 v19, s12, v18
	v_cmp_lt_i32_e32 vcc, -1, v19
	v_cmp_gt_i32_e64 s[0:1], s17, v19
	s_and_b64 s[0:1], vcc, s[0:1]
	s_and_saveexec_b64 s[30:31], s[0:1]
	s_cbranch_execz .LBB58_9
; %bb.11:                               ;   in Loop: Header=BB58_10 Depth=1
	v_cmp_le_i64_e64 s[40:41], v[8:9], v[4:5]
	v_cmp_gt_i64_e32 vcc, v[8:9], v[4:5]
	v_mov_b32_e32 v17, 4
	s_mov_b64 s[2:3], s[40:41]
	s_and_saveexec_b64 s[34:35], vcc
	s_cbranch_execz .LBB58_13
; %bb.12:                               ;   in Loop: Header=BB58_10 Depth=1
	global_load_dwordx2 v[0:1], v[10:11], off
	v_mov_b32_e32 v17, 5
	s_waitcnt vmcnt(0)
	v_subrev_u32_e32 v2, s12, v0
	v_cmp_lt_i32_e64 s[0:1], -1, v2
	v_cmp_gt_i32_e64 s[2:3], s17, v2
	s_and_b64 s[0:1], s[0:1], s[2:3]
	v_cmp_ne_u32_e32 vcc, v1, v0
	s_xor_b64 s[0:1], s[0:1], -1
	s_or_b64 s[0:1], vcc, s[0:1]
	s_andn2_b64 s[2:3], s[40:41], exec
	s_and_b64 s[0:1], s[0:1], exec
	s_or_b64 s[2:3], s[2:3], s[0:1]
.LBB58_13:                              ;   in Loop: Header=BB58_10 Depth=1
	s_or_b64 exec, exec, s[34:35]
	s_mov_b64 s[0:1], -1
	s_mov_b64 s[36:37], -1
	s_and_saveexec_b64 s[34:35], s[2:3]
	s_cbranch_execz .LBB58_8
; %bb.14:                               ;   in Loop: Header=BB58_10 Depth=1
	global_load_dwordx4 v[0:3], v[14:15], off offset:-8
	v_mov_b32_e32 v17, 1
	s_mov_b64 s[2:3], -1
	s_mov_b64 s[38:39], -1
	s_waitcnt vmcnt(0)
	v_cmp_neq_f64_e32 vcc, s[10:11], v[0:1]
	v_cmp_neq_f64_e64 s[0:1], s[10:11], v[2:3]
	s_and_b64 s[0:1], vcc, s[0:1]
	s_and_saveexec_b64 s[36:37], s[0:1]
	s_cbranch_execz .LBB58_7
; %bb.15:                               ;   in Loop: Header=BB58_10 Depth=1
	v_cmp_o_f64_e32 vcc, v[0:1], v[2:3]
	v_mov_b32_e32 v17, 2
	s_mov_b64 s[0:1], -1
	s_and_saveexec_b64 s[38:39], vcc
	s_cbranch_execz .LBB58_6
; %bb.16:                               ;   in Loop: Header=BB58_10 Depth=1
	s_and_b64 vcc, exec, s[20:21]
	s_cbranch_vccz .LBB58_19
; %bb.17:                               ;   in Loop: Header=BB58_10 Depth=1
	s_and_b64 vcc, exec, s[22:23]
	s_cbranch_vccz .LBB58_20
; %bb.18:                               ;   in Loop: Header=BB58_10 Depth=1
	v_cmp_le_i32_e32 vcc, v16, v19
	s_mov_b32 s13, 7
	s_and_b64 s[2:3], vcc, exec
	s_cbranch_execz .LBB58_21
	s_branch .LBB58_22
.LBB58_19:                              ;   in Loop: Header=BB58_10 Depth=1
	s_mov_b32 s13, 2
	s_branch .LBB58_22
.LBB58_20:                              ;   in Loop: Header=BB58_10 Depth=1
	s_mov_b64 s[2:3], 0
	s_mov_b32 s13, 2
.LBB58_21:                              ;   in Loop: Header=BB58_10 Depth=1
	v_cmp_ge_i32_e32 vcc, v16, v19
	s_andn2_b64 s[2:3], s[2:3], exec
	s_and_b64 s[42:43], vcc, exec
	s_mov_b32 s13, 7
	s_or_b64 s[2:3], s[2:3], s[42:43]
.LBB58_22:                              ;   in Loop: Header=BB58_10 Depth=1
	v_mov_b32_e32 v17, s13
	s_mov_b64 s[44:45], -1
	s_and_saveexec_b64 s[42:43], s[2:3]
	s_cbranch_execz .LBB58_5
; %bb.23:                               ;   in Loop: Header=BB58_10 Depth=1
	s_nor_b64 s[0:1], s[14:15], s[40:41]
	s_mov_b64 s[40:41], -1
	v_mov_b32_e32 v17, s13
	s_and_saveexec_b64 s[46:47], s[0:1]
	s_cbranch_execz .LBB58_25
; %bb.24:                               ;   in Loop: Header=BB58_10 Depth=1
	global_load_dword v0, v[12:13], off
	v_mov_b32_e32 v17, 6
	s_waitcnt vmcnt(0)
	v_subrev_u32_e32 v1, s12, v0
	v_cmp_lt_i32_e64 s[0:1], -1, v1
	v_cmp_gt_i32_e64 s[2:3], s17, v1
	s_and_b64 s[0:1], s[0:1], s[2:3]
	v_cmp_gt_i32_e32 vcc, v18, v0
	s_xor_b64 s[0:1], s[0:1], -1
	s_or_b64 s[0:1], vcc, s[0:1]
	s_orn2_b64 s[44:45], s[0:1], exec
.LBB58_25:                              ;   in Loop: Header=BB58_10 Depth=1
	s_or_b64 exec, exec, s[46:47]
	s_mov_b64 s[2:3], -1
	s_and_saveexec_b64 s[0:1], s[44:45]
	s_cbranch_execz .LBB58_4
; %bb.26:                               ;   in Loop: Header=BB58_10 Depth=1
	v_add_co_u32_e32 v8, vcc, 0x80, v8
	v_addc_co_u32_e32 v9, vcc, 0, v9, vcc
	v_add_co_u32_e32 v10, vcc, 0x200, v10
	v_addc_co_u32_e32 v11, vcc, 0, v11, vcc
	;; [unrolled: 2-line block ×4, first 2 shown]
	v_cmp_ge_i64_e32 vcc, v[8:9], v[6:7]
	s_xor_b64 s[2:3], exec, -1
	s_orn2_b64 s[40:41], vcc, exec
	s_branch .LBB58_4
.LBB58_27:
	s_or_b64 exec, exec, s[8:9]
	s_and_b64 s[8:9], s[24:25], exec
.LBB58_28:
	s_or_b64 exec, exec, s[18:19]
	s_orn2_b64 s[10:11], s[8:9], exec
.LBB58_29:
	s_or_b64 exec, exec, s[6:7]
	s_and_b64 exec, exec, s[10:11]
	s_cbranch_execz .LBB58_31
; %bb.30:
	s_load_dwordx2 s[0:1], s[4:5], 0x40
	v_mov_b32_e32 v0, 0
	s_waitcnt lgkmcnt(0)
	global_store_dword v0, v17, s[0:1]
.LBB58_31:
	s_endpgm
	.section	.rodata,"a",@progbits
	.p2align	6, 0x0
	.amdhsa_kernel _ZN9rocsparseL23check_matrix_csr_deviceILj256ELj128E21rocsparse_complex_numIdEliEEvT3_S3_T2_PKT1_PKS4_PKS3_SB_21rocsparse_index_base_22rocsparse_matrix_type_20rocsparse_fill_mode_23rocsparse_storage_mode_P22rocsparse_data_status_
		.amdhsa_group_segment_fixed_size 0
		.amdhsa_private_segment_fixed_size 0
		.amdhsa_kernarg_size 72
		.amdhsa_user_sgpr_count 6
		.amdhsa_user_sgpr_private_segment_buffer 1
		.amdhsa_user_sgpr_dispatch_ptr 0
		.amdhsa_user_sgpr_queue_ptr 0
		.amdhsa_user_sgpr_kernarg_segment_ptr 1
		.amdhsa_user_sgpr_dispatch_id 0
		.amdhsa_user_sgpr_flat_scratch_init 0
		.amdhsa_user_sgpr_private_segment_size 0
		.amdhsa_uses_dynamic_stack 0
		.amdhsa_system_sgpr_private_segment_wavefront_offset 0
		.amdhsa_system_sgpr_workgroup_id_x 1
		.amdhsa_system_sgpr_workgroup_id_y 0
		.amdhsa_system_sgpr_workgroup_id_z 0
		.amdhsa_system_sgpr_workgroup_info 0
		.amdhsa_system_vgpr_workitem_id 0
		.amdhsa_next_free_vgpr 20
		.amdhsa_next_free_sgpr 48
		.amdhsa_reserve_vcc 1
		.amdhsa_reserve_flat_scratch 0
		.amdhsa_float_round_mode_32 0
		.amdhsa_float_round_mode_16_64 0
		.amdhsa_float_denorm_mode_32 3
		.amdhsa_float_denorm_mode_16_64 3
		.amdhsa_dx10_clamp 1
		.amdhsa_ieee_mode 1
		.amdhsa_fp16_overflow 0
		.amdhsa_exception_fp_ieee_invalid_op 0
		.amdhsa_exception_fp_denorm_src 0
		.amdhsa_exception_fp_ieee_div_zero 0
		.amdhsa_exception_fp_ieee_overflow 0
		.amdhsa_exception_fp_ieee_underflow 0
		.amdhsa_exception_fp_ieee_inexact 0
		.amdhsa_exception_int_div_zero 0
	.end_amdhsa_kernel
	.section	.text._ZN9rocsparseL23check_matrix_csr_deviceILj256ELj128E21rocsparse_complex_numIdEliEEvT3_S3_T2_PKT1_PKS4_PKS3_SB_21rocsparse_index_base_22rocsparse_matrix_type_20rocsparse_fill_mode_23rocsparse_storage_mode_P22rocsparse_data_status_,"axG",@progbits,_ZN9rocsparseL23check_matrix_csr_deviceILj256ELj128E21rocsparse_complex_numIdEliEEvT3_S3_T2_PKT1_PKS4_PKS3_SB_21rocsparse_index_base_22rocsparse_matrix_type_20rocsparse_fill_mode_23rocsparse_storage_mode_P22rocsparse_data_status_,comdat
.Lfunc_end58:
	.size	_ZN9rocsparseL23check_matrix_csr_deviceILj256ELj128E21rocsparse_complex_numIdEliEEvT3_S3_T2_PKT1_PKS4_PKS3_SB_21rocsparse_index_base_22rocsparse_matrix_type_20rocsparse_fill_mode_23rocsparse_storage_mode_P22rocsparse_data_status_, .Lfunc_end58-_ZN9rocsparseL23check_matrix_csr_deviceILj256ELj128E21rocsparse_complex_numIdEliEEvT3_S3_T2_PKT1_PKS4_PKS3_SB_21rocsparse_index_base_22rocsparse_matrix_type_20rocsparse_fill_mode_23rocsparse_storage_mode_P22rocsparse_data_status_
                                        ; -- End function
	.set _ZN9rocsparseL23check_matrix_csr_deviceILj256ELj128E21rocsparse_complex_numIdEliEEvT3_S3_T2_PKT1_PKS4_PKS3_SB_21rocsparse_index_base_22rocsparse_matrix_type_20rocsparse_fill_mode_23rocsparse_storage_mode_P22rocsparse_data_status_.num_vgpr, 20
	.set _ZN9rocsparseL23check_matrix_csr_deviceILj256ELj128E21rocsparse_complex_numIdEliEEvT3_S3_T2_PKT1_PKS4_PKS3_SB_21rocsparse_index_base_22rocsparse_matrix_type_20rocsparse_fill_mode_23rocsparse_storage_mode_P22rocsparse_data_status_.num_agpr, 0
	.set _ZN9rocsparseL23check_matrix_csr_deviceILj256ELj128E21rocsparse_complex_numIdEliEEvT3_S3_T2_PKT1_PKS4_PKS3_SB_21rocsparse_index_base_22rocsparse_matrix_type_20rocsparse_fill_mode_23rocsparse_storage_mode_P22rocsparse_data_status_.numbered_sgpr, 48
	.set _ZN9rocsparseL23check_matrix_csr_deviceILj256ELj128E21rocsparse_complex_numIdEliEEvT3_S3_T2_PKT1_PKS4_PKS3_SB_21rocsparse_index_base_22rocsparse_matrix_type_20rocsparse_fill_mode_23rocsparse_storage_mode_P22rocsparse_data_status_.num_named_barrier, 0
	.set _ZN9rocsparseL23check_matrix_csr_deviceILj256ELj128E21rocsparse_complex_numIdEliEEvT3_S3_T2_PKT1_PKS4_PKS3_SB_21rocsparse_index_base_22rocsparse_matrix_type_20rocsparse_fill_mode_23rocsparse_storage_mode_P22rocsparse_data_status_.private_seg_size, 0
	.set _ZN9rocsparseL23check_matrix_csr_deviceILj256ELj128E21rocsparse_complex_numIdEliEEvT3_S3_T2_PKT1_PKS4_PKS3_SB_21rocsparse_index_base_22rocsparse_matrix_type_20rocsparse_fill_mode_23rocsparse_storage_mode_P22rocsparse_data_status_.uses_vcc, 1
	.set _ZN9rocsparseL23check_matrix_csr_deviceILj256ELj128E21rocsparse_complex_numIdEliEEvT3_S3_T2_PKT1_PKS4_PKS3_SB_21rocsparse_index_base_22rocsparse_matrix_type_20rocsparse_fill_mode_23rocsparse_storage_mode_P22rocsparse_data_status_.uses_flat_scratch, 0
	.set _ZN9rocsparseL23check_matrix_csr_deviceILj256ELj128E21rocsparse_complex_numIdEliEEvT3_S3_T2_PKT1_PKS4_PKS3_SB_21rocsparse_index_base_22rocsparse_matrix_type_20rocsparse_fill_mode_23rocsparse_storage_mode_P22rocsparse_data_status_.has_dyn_sized_stack, 0
	.set _ZN9rocsparseL23check_matrix_csr_deviceILj256ELj128E21rocsparse_complex_numIdEliEEvT3_S3_T2_PKT1_PKS4_PKS3_SB_21rocsparse_index_base_22rocsparse_matrix_type_20rocsparse_fill_mode_23rocsparse_storage_mode_P22rocsparse_data_status_.has_recursion, 0
	.set _ZN9rocsparseL23check_matrix_csr_deviceILj256ELj128E21rocsparse_complex_numIdEliEEvT3_S3_T2_PKT1_PKS4_PKS3_SB_21rocsparse_index_base_22rocsparse_matrix_type_20rocsparse_fill_mode_23rocsparse_storage_mode_P22rocsparse_data_status_.has_indirect_call, 0
	.section	.AMDGPU.csdata,"",@progbits
; Kernel info:
; codeLenInByte = 952
; TotalNumSgprs: 52
; NumVgprs: 20
; ScratchSize: 0
; MemoryBound: 0
; FloatMode: 240
; IeeeMode: 1
; LDSByteSize: 0 bytes/workgroup (compile time only)
; SGPRBlocks: 6
; VGPRBlocks: 4
; NumSGPRsForWavesPerEU: 52
; NumVGPRsForWavesPerEU: 20
; Occupancy: 10
; WaveLimiterHint : 0
; COMPUTE_PGM_RSRC2:SCRATCH_EN: 0
; COMPUTE_PGM_RSRC2:USER_SGPR: 6
; COMPUTE_PGM_RSRC2:TRAP_HANDLER: 0
; COMPUTE_PGM_RSRC2:TGID_X_EN: 1
; COMPUTE_PGM_RSRC2:TGID_Y_EN: 0
; COMPUTE_PGM_RSRC2:TGID_Z_EN: 0
; COMPUTE_PGM_RSRC2:TIDIG_COMP_CNT: 0
	.section	.text._ZN9rocsparseL23check_matrix_csr_deviceILj256ELj256E21rocsparse_complex_numIdEliEEvT3_S3_T2_PKT1_PKS4_PKS3_SB_21rocsparse_index_base_22rocsparse_matrix_type_20rocsparse_fill_mode_23rocsparse_storage_mode_P22rocsparse_data_status_,"axG",@progbits,_ZN9rocsparseL23check_matrix_csr_deviceILj256ELj256E21rocsparse_complex_numIdEliEEvT3_S3_T2_PKT1_PKS4_PKS3_SB_21rocsparse_index_base_22rocsparse_matrix_type_20rocsparse_fill_mode_23rocsparse_storage_mode_P22rocsparse_data_status_,comdat
	.globl	_ZN9rocsparseL23check_matrix_csr_deviceILj256ELj256E21rocsparse_complex_numIdEliEEvT3_S3_T2_PKT1_PKS4_PKS3_SB_21rocsparse_index_base_22rocsparse_matrix_type_20rocsparse_fill_mode_23rocsparse_storage_mode_P22rocsparse_data_status_ ; -- Begin function _ZN9rocsparseL23check_matrix_csr_deviceILj256ELj256E21rocsparse_complex_numIdEliEEvT3_S3_T2_PKT1_PKS4_PKS3_SB_21rocsparse_index_base_22rocsparse_matrix_type_20rocsparse_fill_mode_23rocsparse_storage_mode_P22rocsparse_data_status_
	.p2align	8
	.type	_ZN9rocsparseL23check_matrix_csr_deviceILj256ELj256E21rocsparse_complex_numIdEliEEvT3_S3_T2_PKT1_PKS4_PKS3_SB_21rocsparse_index_base_22rocsparse_matrix_type_20rocsparse_fill_mode_23rocsparse_storage_mode_P22rocsparse_data_status_,@function
_ZN9rocsparseL23check_matrix_csr_deviceILj256ELj256E21rocsparse_complex_numIdEliEEvT3_S3_T2_PKT1_PKS4_PKS3_SB_21rocsparse_index_base_22rocsparse_matrix_type_20rocsparse_fill_mode_23rocsparse_storage_mode_P22rocsparse_data_status_: ; @_ZN9rocsparseL23check_matrix_csr_deviceILj256ELj256E21rocsparse_complex_numIdEliEEvT3_S3_T2_PKT1_PKS4_PKS3_SB_21rocsparse_index_base_22rocsparse_matrix_type_20rocsparse_fill_mode_23rocsparse_storage_mode_P22rocsparse_data_status_
; %bb.0:
	s_load_dwordx2 s[16:17], s[4:5], 0x0
	s_and_b32 s33, s6, 0xffffff
	s_waitcnt lgkmcnt(0)
	s_cmp_lt_i32 s33, s16
	s_cselect_b64 s[0:1], -1, 0
	s_and_saveexec_b64 s[2:3], s[0:1]
	s_cbranch_execz .LBB59_31
; %bb.1:
	s_load_dwordx2 s[0:1], s[4:5], 0x18
	v_lshlrev_b32_e64 v1, 3, s33
	v_mov_b32_e32 v16, 3
	s_mov_b64 s[10:11], -1
	s_mov_b64 s[8:9], 0
	s_waitcnt lgkmcnt(0)
	global_load_dwordx4 v[8:11], v1, s[0:1]
	s_load_dwordx2 s[0:1], s[0:1], 0x0
	s_waitcnt lgkmcnt(0)
	v_mov_b32_e32 v1, s1
	s_waitcnt vmcnt(0)
	v_subrev_co_u32_e32 v4, vcc, s0, v8
	v_subb_co_u32_e32 v5, vcc, v9, v1, vcc
	v_subrev_co_u32_e32 v6, vcc, s0, v10
	v_subb_co_u32_e32 v7, vcc, v11, v1, vcc
	v_cmp_gt_i64_e64 s[0:1], 0, v[6:7]
	v_cmp_lt_i64_e64 s[2:3], v[10:11], v[8:9]
	v_cmp_lt_i64_e32 vcc, -1, v[4:5]
	s_or_b64 s[0:1], s[0:1], s[2:3]
	s_xor_b64 s[0:1], s[0:1], -1
	s_and_b64 s[0:1], vcc, s[0:1]
	s_and_saveexec_b64 s[6:7], s[0:1]
	s_cbranch_execz .LBB59_29
; %bb.2:
	v_add_co_u32_e32 v8, vcc, v4, v0
	v_addc_co_u32_e32 v9, vcc, 0, v5, vcc
	v_cmp_lt_u64_e32 vcc, v[8:9], v[6:7]
	v_mov_b32_e32 v16, 3
	s_and_saveexec_b64 s[18:19], vcc
	s_cbranch_execz .LBB59_28
; %bb.3:
	s_load_dwordx8 s[8:15], s[4:5], 0x20
	s_load_dwordx2 s[0:1], s[4:5], 0x10
	v_lshlrev_b64 v[0:1], 2, v[8:9]
                                        ; implicit-def: $sgpr24_sgpr25
                                        ; implicit-def: $sgpr26_sgpr27
                                        ; implicit-def: $sgpr28_sgpr29
	v_add_co_u32_e32 v0, vcc, -4, v0
	v_addc_co_u32_e32 v1, vcc, -1, v1, vcc
	s_waitcnt lgkmcnt(0)
	v_mov_b32_e32 v2, s11
	v_add_co_u32_e32 v10, vcc, s10, v0
	v_addc_co_u32_e32 v11, vcc, v2, v1, vcc
	v_mov_b32_e32 v2, s9
	v_add_co_u32_e32 v12, vcc, s8, v0
	v_addc_co_u32_e32 v13, vcc, v2, v1, vcc
	v_lshlrev_b64 v[0:1], 4, v[8:9]
	s_cmp_lg_u32 s13, 0
	v_mov_b32_e32 v2, s1
	v_add_co_u32_e32 v0, vcc, s0, v0
	s_cselect_b64 s[20:21], -1, 0
	s_cmp_lg_u32 s14, 0
	v_addc_co_u32_e32 v1, vcc, v2, v1, vcc
	s_cselect_b64 s[22:23], -1, 0
	s_cmp_lg_u32 s15, 0
	v_add_co_u32_e32 v14, vcc, 8, v0
	s_mov_b32 s10, 0
	s_cselect_b64 s[14:15], -1, 0
	v_addc_co_u32_e32 v15, vcc, 0, v1, vcc
	s_mov_b32 s11, 0x7ff00000
	s_mov_b64 s[8:9], 0
	s_branch .LBB59_10
.LBB59_4:                               ;   in Loop: Header=BB59_10 Depth=1
	s_or_b64 exec, exec, s[0:1]
	s_orn2_b64 s[44:45], s[2:3], exec
	s_orn2_b64 s[0:1], s[40:41], exec
.LBB59_5:                               ;   in Loop: Header=BB59_10 Depth=1
	s_or_b64 exec, exec, s[42:43]
	s_orn2_b64 s[2:3], s[44:45], exec
	s_orn2_b64 s[0:1], s[0:1], exec
.LBB59_6:                               ;   in Loop: Header=BB59_10 Depth=1
	s_or_b64 exec, exec, s[38:39]
	s_orn2_b64 s[38:39], s[2:3], exec
	s_orn2_b64 s[2:3], s[0:1], exec
.LBB59_7:                               ;   in Loop: Header=BB59_10 Depth=1
	s_or_b64 exec, exec, s[36:37]
	s_orn2_b64 s[36:37], s[38:39], exec
	s_orn2_b64 s[0:1], s[2:3], exec
.LBB59_8:                               ;   in Loop: Header=BB59_10 Depth=1
	s_or_b64 exec, exec, s[34:35]
	s_andn2_b64 s[2:3], s[28:29], exec
	s_and_b64 s[28:29], s[36:37], exec
	s_or_b64 s[28:29], s[2:3], s[28:29]
	s_andn2_b64 s[2:3], s[26:27], exec
	s_and_b64 s[0:1], s[0:1], exec
	s_or_b64 s[26:27], s[2:3], s[0:1]
.LBB59_9:                               ;   in Loop: Header=BB59_10 Depth=1
	s_or_b64 exec, exec, s[30:31]
	s_and_b64 s[0:1], exec, s[26:27]
	s_or_b64 s[8:9], s[0:1], s[8:9]
	s_andn2_b64 s[0:1], s[24:25], exec
	s_and_b64 s[2:3], s[28:29], exec
	s_or_b64 s[24:25], s[0:1], s[2:3]
	s_andn2_b64 exec, exec, s[8:9]
	s_cbranch_execz .LBB59_27
.LBB59_10:                              ; =>This Inner Loop Header: Depth=1
	global_load_dword v17, v[12:13], off offset:4
	v_mov_b32_e32 v16, 4
	s_or_b64 s[28:29], s[28:29], exec
	s_or_b64 s[26:27], s[26:27], exec
	s_waitcnt vmcnt(0)
	v_subrev_u32_e32 v18, s12, v17
	v_cmp_lt_i32_e32 vcc, -1, v18
	v_cmp_gt_i32_e64 s[0:1], s17, v18
	s_and_b64 s[0:1], vcc, s[0:1]
	s_and_saveexec_b64 s[30:31], s[0:1]
	s_cbranch_execz .LBB59_9
; %bb.11:                               ;   in Loop: Header=BB59_10 Depth=1
	v_cmp_le_i64_e64 s[40:41], v[8:9], v[4:5]
	v_cmp_gt_i64_e32 vcc, v[8:9], v[4:5]
	v_mov_b32_e32 v16, 4
	s_mov_b64 s[2:3], s[40:41]
	s_and_saveexec_b64 s[34:35], vcc
	s_cbranch_execz .LBB59_13
; %bb.12:                               ;   in Loop: Header=BB59_10 Depth=1
	global_load_dwordx2 v[0:1], v[10:11], off
	v_mov_b32_e32 v16, 5
	s_waitcnt vmcnt(0)
	v_subrev_u32_e32 v2, s12, v0
	v_cmp_lt_i32_e64 s[0:1], -1, v2
	v_cmp_gt_i32_e64 s[2:3], s17, v2
	s_and_b64 s[0:1], s[0:1], s[2:3]
	v_cmp_ne_u32_e32 vcc, v1, v0
	s_xor_b64 s[0:1], s[0:1], -1
	s_or_b64 s[0:1], vcc, s[0:1]
	s_andn2_b64 s[2:3], s[40:41], exec
	s_and_b64 s[0:1], s[0:1], exec
	s_or_b64 s[2:3], s[2:3], s[0:1]
.LBB59_13:                              ;   in Loop: Header=BB59_10 Depth=1
	s_or_b64 exec, exec, s[34:35]
	s_mov_b64 s[0:1], -1
	s_mov_b64 s[36:37], -1
	s_and_saveexec_b64 s[34:35], s[2:3]
	s_cbranch_execz .LBB59_8
; %bb.14:                               ;   in Loop: Header=BB59_10 Depth=1
	global_load_dwordx4 v[0:3], v[14:15], off offset:-8
	v_mov_b32_e32 v16, 1
	s_mov_b64 s[2:3], -1
	s_mov_b64 s[38:39], -1
	s_waitcnt vmcnt(0)
	v_cmp_neq_f64_e32 vcc, s[10:11], v[0:1]
	v_cmp_neq_f64_e64 s[0:1], s[10:11], v[2:3]
	s_and_b64 s[0:1], vcc, s[0:1]
	s_and_saveexec_b64 s[36:37], s[0:1]
	s_cbranch_execz .LBB59_7
; %bb.15:                               ;   in Loop: Header=BB59_10 Depth=1
	v_cmp_o_f64_e32 vcc, v[0:1], v[2:3]
	v_mov_b32_e32 v16, 2
	s_mov_b64 s[0:1], -1
	s_and_saveexec_b64 s[38:39], vcc
	s_cbranch_execz .LBB59_6
; %bb.16:                               ;   in Loop: Header=BB59_10 Depth=1
	s_and_b64 vcc, exec, s[20:21]
	s_cbranch_vccz .LBB59_19
; %bb.17:                               ;   in Loop: Header=BB59_10 Depth=1
	s_and_b64 vcc, exec, s[22:23]
	s_cbranch_vccz .LBB59_20
; %bb.18:                               ;   in Loop: Header=BB59_10 Depth=1
	v_cmp_le_i32_e32 vcc, s33, v18
	s_mov_b32 s13, 7
	s_and_b64 s[2:3], vcc, exec
	s_cbranch_execz .LBB59_21
	s_branch .LBB59_22
.LBB59_19:                              ;   in Loop: Header=BB59_10 Depth=1
	s_mov_b32 s13, 2
	s_branch .LBB59_22
.LBB59_20:                              ;   in Loop: Header=BB59_10 Depth=1
	s_mov_b64 s[2:3], 0
	s_mov_b32 s13, 2
.LBB59_21:                              ;   in Loop: Header=BB59_10 Depth=1
	v_cmp_ge_i32_e32 vcc, s33, v18
	s_andn2_b64 s[2:3], s[2:3], exec
	s_and_b64 s[42:43], vcc, exec
	s_mov_b32 s13, 7
	s_or_b64 s[2:3], s[2:3], s[42:43]
.LBB59_22:                              ;   in Loop: Header=BB59_10 Depth=1
	v_mov_b32_e32 v16, s13
	s_mov_b64 s[44:45], -1
	s_and_saveexec_b64 s[42:43], s[2:3]
	s_cbranch_execz .LBB59_5
; %bb.23:                               ;   in Loop: Header=BB59_10 Depth=1
	s_nor_b64 s[0:1], s[14:15], s[40:41]
	s_mov_b64 s[40:41], -1
	v_mov_b32_e32 v16, s13
	s_and_saveexec_b64 s[46:47], s[0:1]
	s_cbranch_execz .LBB59_25
; %bb.24:                               ;   in Loop: Header=BB59_10 Depth=1
	global_load_dword v0, v[12:13], off
	v_mov_b32_e32 v16, 6
	s_waitcnt vmcnt(0)
	v_subrev_u32_e32 v1, s12, v0
	v_cmp_lt_i32_e64 s[0:1], -1, v1
	v_cmp_gt_i32_e64 s[2:3], s17, v1
	s_and_b64 s[0:1], s[0:1], s[2:3]
	v_cmp_gt_i32_e32 vcc, v17, v0
	s_xor_b64 s[0:1], s[0:1], -1
	s_or_b64 s[0:1], vcc, s[0:1]
	s_orn2_b64 s[44:45], s[0:1], exec
.LBB59_25:                              ;   in Loop: Header=BB59_10 Depth=1
	s_or_b64 exec, exec, s[46:47]
	s_mov_b64 s[2:3], -1
	s_and_saveexec_b64 s[0:1], s[44:45]
	s_cbranch_execz .LBB59_4
; %bb.26:                               ;   in Loop: Header=BB59_10 Depth=1
	v_add_co_u32_e32 v8, vcc, 0x100, v8
	v_addc_co_u32_e32 v9, vcc, 0, v9, vcc
	v_add_co_u32_e32 v10, vcc, 0x400, v10
	v_addc_co_u32_e32 v11, vcc, 0, v11, vcc
	;; [unrolled: 2-line block ×4, first 2 shown]
	v_cmp_ge_i64_e32 vcc, v[8:9], v[6:7]
	s_xor_b64 s[2:3], exec, -1
	s_orn2_b64 s[40:41], vcc, exec
	s_branch .LBB59_4
.LBB59_27:
	s_or_b64 exec, exec, s[8:9]
	s_and_b64 s[8:9], s[24:25], exec
.LBB59_28:
	s_or_b64 exec, exec, s[18:19]
	s_orn2_b64 s[10:11], s[8:9], exec
.LBB59_29:
	s_or_b64 exec, exec, s[6:7]
	s_and_b64 exec, exec, s[10:11]
	s_cbranch_execz .LBB59_31
; %bb.30:
	s_load_dwordx2 s[0:1], s[4:5], 0x40
	v_mov_b32_e32 v0, 0
	s_waitcnt lgkmcnt(0)
	global_store_dword v0, v16, s[0:1]
.LBB59_31:
	s_endpgm
	.section	.rodata,"a",@progbits
	.p2align	6, 0x0
	.amdhsa_kernel _ZN9rocsparseL23check_matrix_csr_deviceILj256ELj256E21rocsparse_complex_numIdEliEEvT3_S3_T2_PKT1_PKS4_PKS3_SB_21rocsparse_index_base_22rocsparse_matrix_type_20rocsparse_fill_mode_23rocsparse_storage_mode_P22rocsparse_data_status_
		.amdhsa_group_segment_fixed_size 0
		.amdhsa_private_segment_fixed_size 0
		.amdhsa_kernarg_size 72
		.amdhsa_user_sgpr_count 6
		.amdhsa_user_sgpr_private_segment_buffer 1
		.amdhsa_user_sgpr_dispatch_ptr 0
		.amdhsa_user_sgpr_queue_ptr 0
		.amdhsa_user_sgpr_kernarg_segment_ptr 1
		.amdhsa_user_sgpr_dispatch_id 0
		.amdhsa_user_sgpr_flat_scratch_init 0
		.amdhsa_user_sgpr_private_segment_size 0
		.amdhsa_uses_dynamic_stack 0
		.amdhsa_system_sgpr_private_segment_wavefront_offset 0
		.amdhsa_system_sgpr_workgroup_id_x 1
		.amdhsa_system_sgpr_workgroup_id_y 0
		.amdhsa_system_sgpr_workgroup_id_z 0
		.amdhsa_system_sgpr_workgroup_info 0
		.amdhsa_system_vgpr_workitem_id 0
		.amdhsa_next_free_vgpr 19
		.amdhsa_next_free_sgpr 48
		.amdhsa_reserve_vcc 1
		.amdhsa_reserve_flat_scratch 0
		.amdhsa_float_round_mode_32 0
		.amdhsa_float_round_mode_16_64 0
		.amdhsa_float_denorm_mode_32 3
		.amdhsa_float_denorm_mode_16_64 3
		.amdhsa_dx10_clamp 1
		.amdhsa_ieee_mode 1
		.amdhsa_fp16_overflow 0
		.amdhsa_exception_fp_ieee_invalid_op 0
		.amdhsa_exception_fp_denorm_src 0
		.amdhsa_exception_fp_ieee_div_zero 0
		.amdhsa_exception_fp_ieee_overflow 0
		.amdhsa_exception_fp_ieee_underflow 0
		.amdhsa_exception_fp_ieee_inexact 0
		.amdhsa_exception_int_div_zero 0
	.end_amdhsa_kernel
	.section	.text._ZN9rocsparseL23check_matrix_csr_deviceILj256ELj256E21rocsparse_complex_numIdEliEEvT3_S3_T2_PKT1_PKS4_PKS3_SB_21rocsparse_index_base_22rocsparse_matrix_type_20rocsparse_fill_mode_23rocsparse_storage_mode_P22rocsparse_data_status_,"axG",@progbits,_ZN9rocsparseL23check_matrix_csr_deviceILj256ELj256E21rocsparse_complex_numIdEliEEvT3_S3_T2_PKT1_PKS4_PKS3_SB_21rocsparse_index_base_22rocsparse_matrix_type_20rocsparse_fill_mode_23rocsparse_storage_mode_P22rocsparse_data_status_,comdat
.Lfunc_end59:
	.size	_ZN9rocsparseL23check_matrix_csr_deviceILj256ELj256E21rocsparse_complex_numIdEliEEvT3_S3_T2_PKT1_PKS4_PKS3_SB_21rocsparse_index_base_22rocsparse_matrix_type_20rocsparse_fill_mode_23rocsparse_storage_mode_P22rocsparse_data_status_, .Lfunc_end59-_ZN9rocsparseL23check_matrix_csr_deviceILj256ELj256E21rocsparse_complex_numIdEliEEvT3_S3_T2_PKT1_PKS4_PKS3_SB_21rocsparse_index_base_22rocsparse_matrix_type_20rocsparse_fill_mode_23rocsparse_storage_mode_P22rocsparse_data_status_
                                        ; -- End function
	.set _ZN9rocsparseL23check_matrix_csr_deviceILj256ELj256E21rocsparse_complex_numIdEliEEvT3_S3_T2_PKT1_PKS4_PKS3_SB_21rocsparse_index_base_22rocsparse_matrix_type_20rocsparse_fill_mode_23rocsparse_storage_mode_P22rocsparse_data_status_.num_vgpr, 19
	.set _ZN9rocsparseL23check_matrix_csr_deviceILj256ELj256E21rocsparse_complex_numIdEliEEvT3_S3_T2_PKT1_PKS4_PKS3_SB_21rocsparse_index_base_22rocsparse_matrix_type_20rocsparse_fill_mode_23rocsparse_storage_mode_P22rocsparse_data_status_.num_agpr, 0
	.set _ZN9rocsparseL23check_matrix_csr_deviceILj256ELj256E21rocsparse_complex_numIdEliEEvT3_S3_T2_PKT1_PKS4_PKS3_SB_21rocsparse_index_base_22rocsparse_matrix_type_20rocsparse_fill_mode_23rocsparse_storage_mode_P22rocsparse_data_status_.numbered_sgpr, 48
	.set _ZN9rocsparseL23check_matrix_csr_deviceILj256ELj256E21rocsparse_complex_numIdEliEEvT3_S3_T2_PKT1_PKS4_PKS3_SB_21rocsparse_index_base_22rocsparse_matrix_type_20rocsparse_fill_mode_23rocsparse_storage_mode_P22rocsparse_data_status_.num_named_barrier, 0
	.set _ZN9rocsparseL23check_matrix_csr_deviceILj256ELj256E21rocsparse_complex_numIdEliEEvT3_S3_T2_PKT1_PKS4_PKS3_SB_21rocsparse_index_base_22rocsparse_matrix_type_20rocsparse_fill_mode_23rocsparse_storage_mode_P22rocsparse_data_status_.private_seg_size, 0
	.set _ZN9rocsparseL23check_matrix_csr_deviceILj256ELj256E21rocsparse_complex_numIdEliEEvT3_S3_T2_PKT1_PKS4_PKS3_SB_21rocsparse_index_base_22rocsparse_matrix_type_20rocsparse_fill_mode_23rocsparse_storage_mode_P22rocsparse_data_status_.uses_vcc, 1
	.set _ZN9rocsparseL23check_matrix_csr_deviceILj256ELj256E21rocsparse_complex_numIdEliEEvT3_S3_T2_PKT1_PKS4_PKS3_SB_21rocsparse_index_base_22rocsparse_matrix_type_20rocsparse_fill_mode_23rocsparse_storage_mode_P22rocsparse_data_status_.uses_flat_scratch, 0
	.set _ZN9rocsparseL23check_matrix_csr_deviceILj256ELj256E21rocsparse_complex_numIdEliEEvT3_S3_T2_PKT1_PKS4_PKS3_SB_21rocsparse_index_base_22rocsparse_matrix_type_20rocsparse_fill_mode_23rocsparse_storage_mode_P22rocsparse_data_status_.has_dyn_sized_stack, 0
	.set _ZN9rocsparseL23check_matrix_csr_deviceILj256ELj256E21rocsparse_complex_numIdEliEEvT3_S3_T2_PKT1_PKS4_PKS3_SB_21rocsparse_index_base_22rocsparse_matrix_type_20rocsparse_fill_mode_23rocsparse_storage_mode_P22rocsparse_data_status_.has_recursion, 0
	.set _ZN9rocsparseL23check_matrix_csr_deviceILj256ELj256E21rocsparse_complex_numIdEliEEvT3_S3_T2_PKT1_PKS4_PKS3_SB_21rocsparse_index_base_22rocsparse_matrix_type_20rocsparse_fill_mode_23rocsparse_storage_mode_P22rocsparse_data_status_.has_indirect_call, 0
	.section	.AMDGPU.csdata,"",@progbits
; Kernel info:
; codeLenInByte = 948
; TotalNumSgprs: 52
; NumVgprs: 19
; ScratchSize: 0
; MemoryBound: 0
; FloatMode: 240
; IeeeMode: 1
; LDSByteSize: 0 bytes/workgroup (compile time only)
; SGPRBlocks: 6
; VGPRBlocks: 4
; NumSGPRsForWavesPerEU: 52
; NumVGPRsForWavesPerEU: 19
; Occupancy: 10
; WaveLimiterHint : 0
; COMPUTE_PGM_RSRC2:SCRATCH_EN: 0
; COMPUTE_PGM_RSRC2:USER_SGPR: 6
; COMPUTE_PGM_RSRC2:TRAP_HANDLER: 0
; COMPUTE_PGM_RSRC2:TGID_X_EN: 1
; COMPUTE_PGM_RSRC2:TGID_Y_EN: 0
; COMPUTE_PGM_RSRC2:TGID_Z_EN: 0
; COMPUTE_PGM_RSRC2:TIDIG_COMP_CNT: 0
	.section	.text._ZN9rocsparseL19check_row_ptr_arrayILj256EllEEvT1_PKT0_P22rocsparse_data_status_,"axG",@progbits,_ZN9rocsparseL19check_row_ptr_arrayILj256EllEEvT1_PKT0_P22rocsparse_data_status_,comdat
	.globl	_ZN9rocsparseL19check_row_ptr_arrayILj256EllEEvT1_PKT0_P22rocsparse_data_status_ ; -- Begin function _ZN9rocsparseL19check_row_ptr_arrayILj256EllEEvT1_PKT0_P22rocsparse_data_status_
	.p2align	8
	.type	_ZN9rocsparseL19check_row_ptr_arrayILj256EllEEvT1_PKT0_P22rocsparse_data_status_,@function
_ZN9rocsparseL19check_row_ptr_arrayILj256EllEEvT1_PKT0_P22rocsparse_data_status_: ; @_ZN9rocsparseL19check_row_ptr_arrayILj256EllEEvT1_PKT0_P22rocsparse_data_status_
; %bb.0:
	s_load_dwordx2 s[0:1], s[4:5], 0x0
	v_lshl_or_b32 v0, s6, 8, v0
	v_mov_b32_e32 v1, 0
	s_waitcnt lgkmcnt(0)
	v_cmp_gt_i64_e32 vcc, s[0:1], v[0:1]
	s_and_saveexec_b64 s[0:1], vcc
	s_cbranch_execz .LBB60_3
; %bb.1:
	s_load_dwordx2 s[0:1], s[4:5], 0x8
	v_lshlrev_b64 v[0:1], 3, v[0:1]
	s_waitcnt lgkmcnt(0)
	v_mov_b32_e32 v2, s1
	v_add_co_u32_e32 v0, vcc, s0, v0
	v_addc_co_u32_e32 v1, vcc, v2, v1, vcc
	global_load_dwordx4 v[0:3], v[0:1], off
	s_load_dwordx2 s[2:3], s[0:1], 0x0
	s_waitcnt vmcnt(0) lgkmcnt(0)
	v_cmp_gt_i64_e32 vcc, s[2:3], v[2:3]
	v_cmp_lt_i64_e64 s[0:1], v[2:3], v[0:1]
	v_cmp_gt_i64_e64 s[2:3], s[2:3], v[0:1]
	s_or_b64 s[0:1], vcc, s[0:1]
	s_or_b64 s[0:1], s[2:3], s[0:1]
	s_and_b64 exec, exec, s[0:1]
	s_cbranch_execz .LBB60_3
; %bb.2:
	s_load_dwordx2 s[0:1], s[4:5], 0x10
	v_mov_b32_e32 v0, 0
	v_mov_b32_e32 v1, 3
	s_waitcnt lgkmcnt(0)
	global_store_dword v0, v1, s[0:1]
.LBB60_3:
	s_endpgm
	.section	.rodata,"a",@progbits
	.p2align	6, 0x0
	.amdhsa_kernel _ZN9rocsparseL19check_row_ptr_arrayILj256EllEEvT1_PKT0_P22rocsparse_data_status_
		.amdhsa_group_segment_fixed_size 0
		.amdhsa_private_segment_fixed_size 0
		.amdhsa_kernarg_size 24
		.amdhsa_user_sgpr_count 6
		.amdhsa_user_sgpr_private_segment_buffer 1
		.amdhsa_user_sgpr_dispatch_ptr 0
		.amdhsa_user_sgpr_queue_ptr 0
		.amdhsa_user_sgpr_kernarg_segment_ptr 1
		.amdhsa_user_sgpr_dispatch_id 0
		.amdhsa_user_sgpr_flat_scratch_init 0
		.amdhsa_user_sgpr_private_segment_size 0
		.amdhsa_uses_dynamic_stack 0
		.amdhsa_system_sgpr_private_segment_wavefront_offset 0
		.amdhsa_system_sgpr_workgroup_id_x 1
		.amdhsa_system_sgpr_workgroup_id_y 0
		.amdhsa_system_sgpr_workgroup_id_z 0
		.amdhsa_system_sgpr_workgroup_info 0
		.amdhsa_system_vgpr_workitem_id 0
		.amdhsa_next_free_vgpr 4
		.amdhsa_next_free_sgpr 7
		.amdhsa_reserve_vcc 1
		.amdhsa_reserve_flat_scratch 0
		.amdhsa_float_round_mode_32 0
		.amdhsa_float_round_mode_16_64 0
		.amdhsa_float_denorm_mode_32 3
		.amdhsa_float_denorm_mode_16_64 3
		.amdhsa_dx10_clamp 1
		.amdhsa_ieee_mode 1
		.amdhsa_fp16_overflow 0
		.amdhsa_exception_fp_ieee_invalid_op 0
		.amdhsa_exception_fp_denorm_src 0
		.amdhsa_exception_fp_ieee_div_zero 0
		.amdhsa_exception_fp_ieee_overflow 0
		.amdhsa_exception_fp_ieee_underflow 0
		.amdhsa_exception_fp_ieee_inexact 0
		.amdhsa_exception_int_div_zero 0
	.end_amdhsa_kernel
	.section	.text._ZN9rocsparseL19check_row_ptr_arrayILj256EllEEvT1_PKT0_P22rocsparse_data_status_,"axG",@progbits,_ZN9rocsparseL19check_row_ptr_arrayILj256EllEEvT1_PKT0_P22rocsparse_data_status_,comdat
.Lfunc_end60:
	.size	_ZN9rocsparseL19check_row_ptr_arrayILj256EllEEvT1_PKT0_P22rocsparse_data_status_, .Lfunc_end60-_ZN9rocsparseL19check_row_ptr_arrayILj256EllEEvT1_PKT0_P22rocsparse_data_status_
                                        ; -- End function
	.set _ZN9rocsparseL19check_row_ptr_arrayILj256EllEEvT1_PKT0_P22rocsparse_data_status_.num_vgpr, 4
	.set _ZN9rocsparseL19check_row_ptr_arrayILj256EllEEvT1_PKT0_P22rocsparse_data_status_.num_agpr, 0
	.set _ZN9rocsparseL19check_row_ptr_arrayILj256EllEEvT1_PKT0_P22rocsparse_data_status_.numbered_sgpr, 7
	.set _ZN9rocsparseL19check_row_ptr_arrayILj256EllEEvT1_PKT0_P22rocsparse_data_status_.num_named_barrier, 0
	.set _ZN9rocsparseL19check_row_ptr_arrayILj256EllEEvT1_PKT0_P22rocsparse_data_status_.private_seg_size, 0
	.set _ZN9rocsparseL19check_row_ptr_arrayILj256EllEEvT1_PKT0_P22rocsparse_data_status_.uses_vcc, 1
	.set _ZN9rocsparseL19check_row_ptr_arrayILj256EllEEvT1_PKT0_P22rocsparse_data_status_.uses_flat_scratch, 0
	.set _ZN9rocsparseL19check_row_ptr_arrayILj256EllEEvT1_PKT0_P22rocsparse_data_status_.has_dyn_sized_stack, 0
	.set _ZN9rocsparseL19check_row_ptr_arrayILj256EllEEvT1_PKT0_P22rocsparse_data_status_.has_recursion, 0
	.set _ZN9rocsparseL19check_row_ptr_arrayILj256EllEEvT1_PKT0_P22rocsparse_data_status_.has_indirect_call, 0
	.section	.AMDGPU.csdata,"",@progbits
; Kernel info:
; codeLenInByte = 156
; TotalNumSgprs: 11
; NumVgprs: 4
; ScratchSize: 0
; MemoryBound: 0
; FloatMode: 240
; IeeeMode: 1
; LDSByteSize: 0 bytes/workgroup (compile time only)
; SGPRBlocks: 1
; VGPRBlocks: 0
; NumSGPRsForWavesPerEU: 11
; NumVGPRsForWavesPerEU: 4
; Occupancy: 10
; WaveLimiterHint : 0
; COMPUTE_PGM_RSRC2:SCRATCH_EN: 0
; COMPUTE_PGM_RSRC2:USER_SGPR: 6
; COMPUTE_PGM_RSRC2:TRAP_HANDLER: 0
; COMPUTE_PGM_RSRC2:TGID_X_EN: 1
; COMPUTE_PGM_RSRC2:TGID_Y_EN: 0
; COMPUTE_PGM_RSRC2:TGID_Z_EN: 0
; COMPUTE_PGM_RSRC2:TIDIG_COMP_CNT: 0
	.section	.text._ZN9rocsparseL20shift_offsets_kernelILj512EllEEvT1_PKT0_PS2_,"axG",@progbits,_ZN9rocsparseL20shift_offsets_kernelILj512EllEEvT1_PKT0_PS2_,comdat
	.globl	_ZN9rocsparseL20shift_offsets_kernelILj512EllEEvT1_PKT0_PS2_ ; -- Begin function _ZN9rocsparseL20shift_offsets_kernelILj512EllEEvT1_PKT0_PS2_
	.p2align	8
	.type	_ZN9rocsparseL20shift_offsets_kernelILj512EllEEvT1_PKT0_PS2_,@function
_ZN9rocsparseL20shift_offsets_kernelILj512EllEEvT1_PKT0_PS2_: ; @_ZN9rocsparseL20shift_offsets_kernelILj512EllEEvT1_PKT0_PS2_
; %bb.0:
	s_load_dwordx2 s[0:1], s[4:5], 0x0
	v_lshl_or_b32 v0, s6, 9, v0
	v_mov_b32_e32 v1, 0
	s_waitcnt lgkmcnt(0)
	v_cmp_gt_i64_e32 vcc, s[0:1], v[0:1]
	s_and_saveexec_b64 s[0:1], vcc
	s_cbranch_execz .LBB61_2
; %bb.1:
	s_load_dwordx4 s[0:3], s[4:5], 0x8
	v_lshlrev_b64 v[0:1], 3, v[0:1]
	s_waitcnt lgkmcnt(0)
	v_mov_b32_e32 v3, s1
	v_add_co_u32_e32 v2, vcc, s0, v0
	v_addc_co_u32_e32 v3, vcc, v3, v1, vcc
	global_load_dwordx2 v[2:3], v[2:3], off
	s_load_dwordx2 s[0:1], s[0:1], 0x0
	v_mov_b32_e32 v4, s3
	v_add_co_u32_e32 v0, vcc, s2, v0
	v_addc_co_u32_e32 v1, vcc, v4, v1, vcc
	s_waitcnt lgkmcnt(0)
	v_mov_b32_e32 v4, s1
	s_waitcnt vmcnt(0)
	v_subrev_co_u32_e32 v2, vcc, s0, v2
	v_subb_co_u32_e32 v3, vcc, v3, v4, vcc
	global_store_dwordx2 v[0:1], v[2:3], off
.LBB61_2:
	s_endpgm
	.section	.rodata,"a",@progbits
	.p2align	6, 0x0
	.amdhsa_kernel _ZN9rocsparseL20shift_offsets_kernelILj512EllEEvT1_PKT0_PS2_
		.amdhsa_group_segment_fixed_size 0
		.amdhsa_private_segment_fixed_size 0
		.amdhsa_kernarg_size 24
		.amdhsa_user_sgpr_count 6
		.amdhsa_user_sgpr_private_segment_buffer 1
		.amdhsa_user_sgpr_dispatch_ptr 0
		.amdhsa_user_sgpr_queue_ptr 0
		.amdhsa_user_sgpr_kernarg_segment_ptr 1
		.amdhsa_user_sgpr_dispatch_id 0
		.amdhsa_user_sgpr_flat_scratch_init 0
		.amdhsa_user_sgpr_private_segment_size 0
		.amdhsa_uses_dynamic_stack 0
		.amdhsa_system_sgpr_private_segment_wavefront_offset 0
		.amdhsa_system_sgpr_workgroup_id_x 1
		.amdhsa_system_sgpr_workgroup_id_y 0
		.amdhsa_system_sgpr_workgroup_id_z 0
		.amdhsa_system_sgpr_workgroup_info 0
		.amdhsa_system_vgpr_workitem_id 0
		.amdhsa_next_free_vgpr 5
		.amdhsa_next_free_sgpr 7
		.amdhsa_reserve_vcc 1
		.amdhsa_reserve_flat_scratch 0
		.amdhsa_float_round_mode_32 0
		.amdhsa_float_round_mode_16_64 0
		.amdhsa_float_denorm_mode_32 3
		.amdhsa_float_denorm_mode_16_64 3
		.amdhsa_dx10_clamp 1
		.amdhsa_ieee_mode 1
		.amdhsa_fp16_overflow 0
		.amdhsa_exception_fp_ieee_invalid_op 0
		.amdhsa_exception_fp_denorm_src 0
		.amdhsa_exception_fp_ieee_div_zero 0
		.amdhsa_exception_fp_ieee_overflow 0
		.amdhsa_exception_fp_ieee_underflow 0
		.amdhsa_exception_fp_ieee_inexact 0
		.amdhsa_exception_int_div_zero 0
	.end_amdhsa_kernel
	.section	.text._ZN9rocsparseL20shift_offsets_kernelILj512EllEEvT1_PKT0_PS2_,"axG",@progbits,_ZN9rocsparseL20shift_offsets_kernelILj512EllEEvT1_PKT0_PS2_,comdat
.Lfunc_end61:
	.size	_ZN9rocsparseL20shift_offsets_kernelILj512EllEEvT1_PKT0_PS2_, .Lfunc_end61-_ZN9rocsparseL20shift_offsets_kernelILj512EllEEvT1_PKT0_PS2_
                                        ; -- End function
	.set _ZN9rocsparseL20shift_offsets_kernelILj512EllEEvT1_PKT0_PS2_.num_vgpr, 5
	.set _ZN9rocsparseL20shift_offsets_kernelILj512EllEEvT1_PKT0_PS2_.num_agpr, 0
	.set _ZN9rocsparseL20shift_offsets_kernelILj512EllEEvT1_PKT0_PS2_.numbered_sgpr, 7
	.set _ZN9rocsparseL20shift_offsets_kernelILj512EllEEvT1_PKT0_PS2_.num_named_barrier, 0
	.set _ZN9rocsparseL20shift_offsets_kernelILj512EllEEvT1_PKT0_PS2_.private_seg_size, 0
	.set _ZN9rocsparseL20shift_offsets_kernelILj512EllEEvT1_PKT0_PS2_.uses_vcc, 1
	.set _ZN9rocsparseL20shift_offsets_kernelILj512EllEEvT1_PKT0_PS2_.uses_flat_scratch, 0
	.set _ZN9rocsparseL20shift_offsets_kernelILj512EllEEvT1_PKT0_PS2_.has_dyn_sized_stack, 0
	.set _ZN9rocsparseL20shift_offsets_kernelILj512EllEEvT1_PKT0_PS2_.has_recursion, 0
	.set _ZN9rocsparseL20shift_offsets_kernelILj512EllEEvT1_PKT0_PS2_.has_indirect_call, 0
	.section	.AMDGPU.csdata,"",@progbits
; Kernel info:
; codeLenInByte = 128
; TotalNumSgprs: 11
; NumVgprs: 5
; ScratchSize: 0
; MemoryBound: 1
; FloatMode: 240
; IeeeMode: 1
; LDSByteSize: 0 bytes/workgroup (compile time only)
; SGPRBlocks: 1
; VGPRBlocks: 1
; NumSGPRsForWavesPerEU: 11
; NumVGPRsForWavesPerEU: 5
; Occupancy: 10
; WaveLimiterHint : 0
; COMPUTE_PGM_RSRC2:SCRATCH_EN: 0
; COMPUTE_PGM_RSRC2:USER_SGPR: 6
; COMPUTE_PGM_RSRC2:TRAP_HANDLER: 0
; COMPUTE_PGM_RSRC2:TGID_X_EN: 1
; COMPUTE_PGM_RSRC2:TGID_Y_EN: 0
; COMPUTE_PGM_RSRC2:TGID_Z_EN: 0
; COMPUTE_PGM_RSRC2:TIDIG_COMP_CNT: 0
	.section	.text._ZN9rocsparseL23check_matrix_csr_deviceILj256ELj4EfllEEvT3_S1_T2_PKT1_PKS2_PKS1_S9_21rocsparse_index_base_22rocsparse_matrix_type_20rocsparse_fill_mode_23rocsparse_storage_mode_P22rocsparse_data_status_,"axG",@progbits,_ZN9rocsparseL23check_matrix_csr_deviceILj256ELj4EfllEEvT3_S1_T2_PKT1_PKS2_PKS1_S9_21rocsparse_index_base_22rocsparse_matrix_type_20rocsparse_fill_mode_23rocsparse_storage_mode_P22rocsparse_data_status_,comdat
	.globl	_ZN9rocsparseL23check_matrix_csr_deviceILj256ELj4EfllEEvT3_S1_T2_PKT1_PKS2_PKS1_S9_21rocsparse_index_base_22rocsparse_matrix_type_20rocsparse_fill_mode_23rocsparse_storage_mode_P22rocsparse_data_status_ ; -- Begin function _ZN9rocsparseL23check_matrix_csr_deviceILj256ELj4EfllEEvT3_S1_T2_PKT1_PKS2_PKS1_S9_21rocsparse_index_base_22rocsparse_matrix_type_20rocsparse_fill_mode_23rocsparse_storage_mode_P22rocsparse_data_status_
	.p2align	8
	.type	_ZN9rocsparseL23check_matrix_csr_deviceILj256ELj4EfllEEvT3_S1_T2_PKT1_PKS2_PKS1_S9_21rocsparse_index_base_22rocsparse_matrix_type_20rocsparse_fill_mode_23rocsparse_storage_mode_P22rocsparse_data_status_,@function
_ZN9rocsparseL23check_matrix_csr_deviceILj256ELj4EfllEEvT3_S1_T2_PKT1_PKS2_PKS1_S9_21rocsparse_index_base_22rocsparse_matrix_type_20rocsparse_fill_mode_23rocsparse_storage_mode_P22rocsparse_data_status_: ; @_ZN9rocsparseL23check_matrix_csr_deviceILj256ELj4EfllEEvT3_S1_T2_PKT1_PKS2_PKS1_S9_21rocsparse_index_base_22rocsparse_matrix_type_20rocsparse_fill_mode_23rocsparse_storage_mode_P22rocsparse_data_status_
; %bb.0:
	s_load_dwordx4 s[16:19], s[4:5], 0x0
	v_lshl_or_b32 v1, s6, 8, v0
	v_lshrrev_b32_e32 v1, 2, v1
	v_mov_b32_e32 v2, 0
	s_waitcnt lgkmcnt(0)
	v_cmp_gt_i64_e32 vcc, s[16:17], v[1:2]
	s_and_saveexec_b64 s[0:1], vcc
	s_cbranch_execz .LBB62_31
; %bb.1:
	s_load_dwordx2 s[0:1], s[4:5], 0x20
	v_lshlrev_b64 v[3:4], 3, v[1:2]
	v_mov_b32_e32 v19, 3
	s_mov_b64 s[10:11], -1
	s_mov_b64 s[8:9], 0
	s_waitcnt lgkmcnt(0)
	v_mov_b32_e32 v5, s1
	v_add_co_u32_e32 v3, vcc, s0, v3
	v_addc_co_u32_e32 v4, vcc, v5, v4, vcc
	global_load_dwordx4 v[7:10], v[3:4], off
	s_load_dwordx2 s[0:1], s[0:1], 0x0
	s_waitcnt lgkmcnt(0)
	v_mov_b32_e32 v6, s1
	s_waitcnt vmcnt(0)
	v_subrev_co_u32_e32 v3, vcc, s0, v7
	v_subb_co_u32_e32 v4, vcc, v8, v6, vcc
	v_subrev_co_u32_e32 v5, vcc, s0, v9
	v_subb_co_u32_e32 v6, vcc, v10, v6, vcc
	v_cmp_gt_i64_e64 s[0:1], 0, v[5:6]
	v_cmp_lt_i64_e64 s[2:3], v[9:10], v[7:8]
	v_cmp_lt_i64_e32 vcc, -1, v[3:4]
	s_or_b64 s[0:1], s[0:1], s[2:3]
	s_xor_b64 s[0:1], s[0:1], -1
	s_and_b64 s[0:1], vcc, s[0:1]
	s_and_saveexec_b64 s[6:7], s[0:1]
	s_cbranch_execz .LBB62_29
; %bb.2:
	v_and_b32_e32 v0, 3, v0
	v_add_co_u32_e32 v7, vcc, v3, v0
	v_addc_co_u32_e32 v8, vcc, 0, v4, vcc
	v_cmp_lt_u64_e32 vcc, v[7:8], v[5:6]
	v_mov_b32_e32 v19, 3
	s_and_saveexec_b64 s[16:17], vcc
	s_cbranch_execz .LBB62_28
; %bb.3:
	s_load_dwordx8 s[8:15], s[4:5], 0x28
	s_load_dwordx2 s[0:1], s[4:5], 0x18
	v_lshlrev_b64 v[13:14], 3, v[7:8]
	v_lshlrev_b64 v[11:12], 2, v[7:8]
                                        ; implicit-def: $sgpr24_sgpr25
                                        ; implicit-def: $sgpr26_sgpr27
	s_waitcnt lgkmcnt(0)
	v_mov_b32_e32 v0, s11
	v_add_co_u32_e32 v9, vcc, s10, v13
	v_addc_co_u32_e32 v0, vcc, v0, v14, vcc
	v_add_co_u32_e32 v9, vcc, -8, v9
	v_addc_co_u32_e32 v10, vcc, -1, v0, vcc
	s_cmp_lg_u32 s13, 0
	v_mov_b32_e32 v0, s1
	v_add_co_u32_e32 v11, vcc, s0, v11
	s_cselect_b64 s[20:21], -1, 0
	s_cmp_lg_u32 s14, 0
	v_addc_co_u32_e32 v12, vcc, v0, v12, vcc
	s_cselect_b64 s[22:23], -1, 0
	s_cmp_lg_u32 s15, 0
	v_mov_b32_e32 v0, s9
	v_add_co_u32_e32 v13, vcc, s8, v13
	s_cselect_b64 s[14:15], -1, 0
	v_addc_co_u32_e32 v14, vcc, v0, v14, vcc
	s_mov_b64 s[8:9], 0
	s_mov_b32 s13, 0x7f800000
                                        ; implicit-def: $sgpr10_sgpr11
	s_branch .LBB62_10
.LBB62_4:                               ;   in Loop: Header=BB62_10 Depth=1
	s_or_b64 exec, exec, s[0:1]
	s_orn2_b64 s[42:43], s[2:3], exec
	s_orn2_b64 s[0:1], s[38:39], exec
.LBB62_5:                               ;   in Loop: Header=BB62_10 Depth=1
	s_or_b64 exec, exec, s[40:41]
	s_orn2_b64 s[2:3], s[42:43], exec
	s_orn2_b64 s[0:1], s[0:1], exec
.LBB62_6:                               ;   in Loop: Header=BB62_10 Depth=1
	s_or_b64 exec, exec, s[36:37]
	s_orn2_b64 s[2:3], s[2:3], exec
	s_orn2_b64 s[0:1], s[0:1], exec
.LBB62_7:                               ;   in Loop: Header=BB62_10 Depth=1
	s_or_b64 exec, exec, s[34:35]
	s_orn2_b64 s[2:3], s[2:3], exec
	s_orn2_b64 s[0:1], s[0:1], exec
.LBB62_8:                               ;   in Loop: Header=BB62_10 Depth=1
	s_or_b64 exec, exec, s[30:31]
	s_andn2_b64 s[26:27], s[26:27], exec
	s_and_b64 s[2:3], s[2:3], exec
	s_or_b64 s[26:27], s[26:27], s[2:3]
	s_andn2_b64 s[2:3], s[24:25], exec
	s_and_b64 s[0:1], s[0:1], exec
	s_or_b64 s[24:25], s[2:3], s[0:1]
.LBB62_9:                               ;   in Loop: Header=BB62_10 Depth=1
	s_or_b64 exec, exec, s[28:29]
	s_and_b64 s[0:1], exec, s[24:25]
	s_or_b64 s[8:9], s[0:1], s[8:9]
	s_andn2_b64 s[0:1], s[10:11], exec
	s_and_b64 s[2:3], s[26:27], exec
	s_or_b64 s[10:11], s[0:1], s[2:3]
	s_andn2_b64 exec, exec, s[8:9]
	s_cbranch_execz .LBB62_27
.LBB62_10:                              ; =>This Inner Loop Header: Depth=1
	global_load_dwordx2 v[15:16], v[13:14], off
	v_mov_b32_e32 v19, 4
	s_or_b64 s[26:27], s[26:27], exec
	s_or_b64 s[24:25], s[24:25], exec
	s_waitcnt vmcnt(0)
	v_subrev_co_u32_e32 v17, vcc, s12, v15
	v_subbrev_co_u32_e32 v18, vcc, 0, v16, vcc
	v_cmp_lt_i64_e32 vcc, -1, v[17:18]
	v_cmp_gt_i64_e64 s[0:1], s[18:19], v[17:18]
	s_and_b64 s[0:1], vcc, s[0:1]
	s_and_saveexec_b64 s[28:29], s[0:1]
	s_cbranch_execz .LBB62_9
; %bb.11:                               ;   in Loop: Header=BB62_10 Depth=1
	v_cmp_le_i64_e64 s[38:39], v[7:8], v[3:4]
	v_cmp_gt_i64_e32 vcc, v[7:8], v[3:4]
	v_mov_b32_e32 v19, 4
	s_mov_b64 s[34:35], s[38:39]
	s_and_saveexec_b64 s[30:31], vcc
	s_cbranch_execz .LBB62_13
; %bb.12:                               ;   in Loop: Header=BB62_10 Depth=1
	global_load_dwordx4 v[19:22], v[9:10], off
	s_waitcnt vmcnt(0)
	v_subrev_co_u32_e32 v23, vcc, s12, v19
	v_subbrev_co_u32_e32 v24, vcc, 0, v20, vcc
	v_cmp_lt_i64_e64 s[0:1], -1, v[23:24]
	v_cmp_gt_i64_e64 s[2:3], s[18:19], v[23:24]
	v_cmp_ne_u64_e32 vcc, v[21:22], v[19:20]
	s_and_b64 s[0:1], s[0:1], s[2:3]
	s_xor_b64 s[0:1], s[0:1], -1
	s_or_b64 s[0:1], vcc, s[0:1]
	s_andn2_b64 s[2:3], s[38:39], exec
	s_and_b64 s[0:1], s[0:1], exec
	v_mov_b32_e32 v19, 5
	s_or_b64 s[34:35], s[2:3], s[0:1]
.LBB62_13:                              ;   in Loop: Header=BB62_10 Depth=1
	s_or_b64 exec, exec, s[30:31]
	s_mov_b64 s[0:1], -1
	s_mov_b64 s[2:3], -1
	s_and_saveexec_b64 s[30:31], s[34:35]
	s_cbranch_execz .LBB62_8
; %bb.14:                               ;   in Loop: Header=BB62_10 Depth=1
	global_load_dword v0, v[11:12], off
	v_mov_b32_e32 v19, 1
	s_waitcnt vmcnt(0)
	v_cmp_neq_f32_e32 vcc, s13, v0
	s_and_saveexec_b64 s[34:35], vcc
	s_cbranch_execz .LBB62_7
; %bb.15:                               ;   in Loop: Header=BB62_10 Depth=1
	v_cmp_o_f32_e32 vcc, v0, v0
	v_mov_b32_e32 v19, 2
	s_and_saveexec_b64 s[36:37], vcc
	s_cbranch_execz .LBB62_6
; %bb.16:                               ;   in Loop: Header=BB62_10 Depth=1
	s_and_b64 vcc, exec, s[20:21]
	s_cbranch_vccz .LBB62_19
; %bb.17:                               ;   in Loop: Header=BB62_10 Depth=1
	s_and_b64 vcc, exec, s[22:23]
	s_cbranch_vccz .LBB62_20
; %bb.18:                               ;   in Loop: Header=BB62_10 Depth=1
	v_cmp_ge_i64_e32 vcc, v[17:18], v[1:2]
	s_mov_b32 s33, 7
	s_and_b64 s[2:3], vcc, exec
	s_cbranch_execz .LBB62_21
	s_branch .LBB62_22
.LBB62_19:                              ;   in Loop: Header=BB62_10 Depth=1
	s_mov_b32 s33, 2
	s_branch .LBB62_22
.LBB62_20:                              ;   in Loop: Header=BB62_10 Depth=1
	s_mov_b64 s[2:3], 0
	s_mov_b32 s33, 2
.LBB62_21:                              ;   in Loop: Header=BB62_10 Depth=1
	v_cmp_le_i64_e32 vcc, v[17:18], v[1:2]
	s_andn2_b64 s[2:3], s[2:3], exec
	s_and_b64 s[40:41], vcc, exec
	s_mov_b32 s33, 7
	s_or_b64 s[2:3], s[2:3], s[40:41]
.LBB62_22:                              ;   in Loop: Header=BB62_10 Depth=1
	v_mov_b32_e32 v19, s33
	s_mov_b64 s[42:43], -1
	s_and_saveexec_b64 s[40:41], s[2:3]
	s_cbranch_execz .LBB62_5
; %bb.23:                               ;   in Loop: Header=BB62_10 Depth=1
	s_nor_b64 s[0:1], s[14:15], s[38:39]
	s_mov_b64 s[38:39], -1
	v_mov_b32_e32 v19, s33
	s_mov_b64 s[44:45], -1
	s_and_saveexec_b64 s[42:43], s[0:1]
	s_cbranch_execz .LBB62_25
; %bb.24:                               ;   in Loop: Header=BB62_10 Depth=1
	global_load_dwordx2 v[17:18], v[13:14], off offset:-8
	s_waitcnt vmcnt(0)
	v_subrev_co_u32_e32 v19, vcc, s12, v17
	v_subbrev_co_u32_e32 v20, vcc, 0, v18, vcc
	v_cmp_lt_i64_e32 vcc, -1, v[19:20]
	v_cmp_gt_i64_e64 s[0:1], s[18:19], v[19:20]
	v_cmp_gt_i64_e64 s[2:3], v[15:16], v[17:18]
	s_and_b64 s[0:1], vcc, s[0:1]
	s_xor_b64 s[0:1], s[0:1], -1
	s_or_b64 s[0:1], s[2:3], s[0:1]
	v_mov_b32_e32 v19, 6
	s_orn2_b64 s[44:45], s[0:1], exec
.LBB62_25:                              ;   in Loop: Header=BB62_10 Depth=1
	s_or_b64 exec, exec, s[42:43]
	s_mov_b64 s[2:3], -1
	s_and_saveexec_b64 s[0:1], s[44:45]
	s_cbranch_execz .LBB62_4
; %bb.26:                               ;   in Loop: Header=BB62_10 Depth=1
	v_add_co_u32_e32 v7, vcc, 4, v7
	v_addc_co_u32_e32 v8, vcc, 0, v8, vcc
	v_add_co_u32_e32 v9, vcc, 32, v9
	v_addc_co_u32_e32 v10, vcc, 0, v10, vcc
	;; [unrolled: 2-line block ×4, first 2 shown]
	v_cmp_ge_i64_e32 vcc, v[7:8], v[5:6]
	s_xor_b64 s[2:3], exec, -1
	s_orn2_b64 s[38:39], vcc, exec
	s_branch .LBB62_4
.LBB62_27:
	s_or_b64 exec, exec, s[8:9]
	s_and_b64 s[8:9], s[10:11], exec
.LBB62_28:
	s_or_b64 exec, exec, s[16:17]
	s_orn2_b64 s[10:11], s[8:9], exec
.LBB62_29:
	s_or_b64 exec, exec, s[6:7]
	s_and_b64 exec, exec, s[10:11]
	s_cbranch_execz .LBB62_31
; %bb.30:
	s_load_dwordx2 s[0:1], s[4:5], 0x48
	v_mov_b32_e32 v0, 0
	s_waitcnt lgkmcnt(0)
	global_store_dword v0, v19, s[0:1]
.LBB62_31:
	s_endpgm
	.section	.rodata,"a",@progbits
	.p2align	6, 0x0
	.amdhsa_kernel _ZN9rocsparseL23check_matrix_csr_deviceILj256ELj4EfllEEvT3_S1_T2_PKT1_PKS2_PKS1_S9_21rocsparse_index_base_22rocsparse_matrix_type_20rocsparse_fill_mode_23rocsparse_storage_mode_P22rocsparse_data_status_
		.amdhsa_group_segment_fixed_size 0
		.amdhsa_private_segment_fixed_size 0
		.amdhsa_kernarg_size 80
		.amdhsa_user_sgpr_count 6
		.amdhsa_user_sgpr_private_segment_buffer 1
		.amdhsa_user_sgpr_dispatch_ptr 0
		.amdhsa_user_sgpr_queue_ptr 0
		.amdhsa_user_sgpr_kernarg_segment_ptr 1
		.amdhsa_user_sgpr_dispatch_id 0
		.amdhsa_user_sgpr_flat_scratch_init 0
		.amdhsa_user_sgpr_private_segment_size 0
		.amdhsa_uses_dynamic_stack 0
		.amdhsa_system_sgpr_private_segment_wavefront_offset 0
		.amdhsa_system_sgpr_workgroup_id_x 1
		.amdhsa_system_sgpr_workgroup_id_y 0
		.amdhsa_system_sgpr_workgroup_id_z 0
		.amdhsa_system_sgpr_workgroup_info 0
		.amdhsa_system_vgpr_workitem_id 0
		.amdhsa_next_free_vgpr 25
		.amdhsa_next_free_sgpr 46
		.amdhsa_reserve_vcc 1
		.amdhsa_reserve_flat_scratch 0
		.amdhsa_float_round_mode_32 0
		.amdhsa_float_round_mode_16_64 0
		.amdhsa_float_denorm_mode_32 3
		.amdhsa_float_denorm_mode_16_64 3
		.amdhsa_dx10_clamp 1
		.amdhsa_ieee_mode 1
		.amdhsa_fp16_overflow 0
		.amdhsa_exception_fp_ieee_invalid_op 0
		.amdhsa_exception_fp_denorm_src 0
		.amdhsa_exception_fp_ieee_div_zero 0
		.amdhsa_exception_fp_ieee_overflow 0
		.amdhsa_exception_fp_ieee_underflow 0
		.amdhsa_exception_fp_ieee_inexact 0
		.amdhsa_exception_int_div_zero 0
	.end_amdhsa_kernel
	.section	.text._ZN9rocsparseL23check_matrix_csr_deviceILj256ELj4EfllEEvT3_S1_T2_PKT1_PKS2_PKS1_S9_21rocsparse_index_base_22rocsparse_matrix_type_20rocsparse_fill_mode_23rocsparse_storage_mode_P22rocsparse_data_status_,"axG",@progbits,_ZN9rocsparseL23check_matrix_csr_deviceILj256ELj4EfllEEvT3_S1_T2_PKT1_PKS2_PKS1_S9_21rocsparse_index_base_22rocsparse_matrix_type_20rocsparse_fill_mode_23rocsparse_storage_mode_P22rocsparse_data_status_,comdat
.Lfunc_end62:
	.size	_ZN9rocsparseL23check_matrix_csr_deviceILj256ELj4EfllEEvT3_S1_T2_PKT1_PKS2_PKS1_S9_21rocsparse_index_base_22rocsparse_matrix_type_20rocsparse_fill_mode_23rocsparse_storage_mode_P22rocsparse_data_status_, .Lfunc_end62-_ZN9rocsparseL23check_matrix_csr_deviceILj256ELj4EfllEEvT3_S1_T2_PKT1_PKS2_PKS1_S9_21rocsparse_index_base_22rocsparse_matrix_type_20rocsparse_fill_mode_23rocsparse_storage_mode_P22rocsparse_data_status_
                                        ; -- End function
	.set _ZN9rocsparseL23check_matrix_csr_deviceILj256ELj4EfllEEvT3_S1_T2_PKT1_PKS2_PKS1_S9_21rocsparse_index_base_22rocsparse_matrix_type_20rocsparse_fill_mode_23rocsparse_storage_mode_P22rocsparse_data_status_.num_vgpr, 25
	.set _ZN9rocsparseL23check_matrix_csr_deviceILj256ELj4EfllEEvT3_S1_T2_PKT1_PKS2_PKS1_S9_21rocsparse_index_base_22rocsparse_matrix_type_20rocsparse_fill_mode_23rocsparse_storage_mode_P22rocsparse_data_status_.num_agpr, 0
	.set _ZN9rocsparseL23check_matrix_csr_deviceILj256ELj4EfllEEvT3_S1_T2_PKT1_PKS2_PKS1_S9_21rocsparse_index_base_22rocsparse_matrix_type_20rocsparse_fill_mode_23rocsparse_storage_mode_P22rocsparse_data_status_.numbered_sgpr, 46
	.set _ZN9rocsparseL23check_matrix_csr_deviceILj256ELj4EfllEEvT3_S1_T2_PKT1_PKS2_PKS1_S9_21rocsparse_index_base_22rocsparse_matrix_type_20rocsparse_fill_mode_23rocsparse_storage_mode_P22rocsparse_data_status_.num_named_barrier, 0
	.set _ZN9rocsparseL23check_matrix_csr_deviceILj256ELj4EfllEEvT3_S1_T2_PKT1_PKS2_PKS1_S9_21rocsparse_index_base_22rocsparse_matrix_type_20rocsparse_fill_mode_23rocsparse_storage_mode_P22rocsparse_data_status_.private_seg_size, 0
	.set _ZN9rocsparseL23check_matrix_csr_deviceILj256ELj4EfllEEvT3_S1_T2_PKT1_PKS2_PKS1_S9_21rocsparse_index_base_22rocsparse_matrix_type_20rocsparse_fill_mode_23rocsparse_storage_mode_P22rocsparse_data_status_.uses_vcc, 1
	.set _ZN9rocsparseL23check_matrix_csr_deviceILj256ELj4EfllEEvT3_S1_T2_PKT1_PKS2_PKS1_S9_21rocsparse_index_base_22rocsparse_matrix_type_20rocsparse_fill_mode_23rocsparse_storage_mode_P22rocsparse_data_status_.uses_flat_scratch, 0
	.set _ZN9rocsparseL23check_matrix_csr_deviceILj256ELj4EfllEEvT3_S1_T2_PKT1_PKS2_PKS1_S9_21rocsparse_index_base_22rocsparse_matrix_type_20rocsparse_fill_mode_23rocsparse_storage_mode_P22rocsparse_data_status_.has_dyn_sized_stack, 0
	.set _ZN9rocsparseL23check_matrix_csr_deviceILj256ELj4EfllEEvT3_S1_T2_PKT1_PKS2_PKS1_S9_21rocsparse_index_base_22rocsparse_matrix_type_20rocsparse_fill_mode_23rocsparse_storage_mode_P22rocsparse_data_status_.has_recursion, 0
	.set _ZN9rocsparseL23check_matrix_csr_deviceILj256ELj4EfllEEvT3_S1_T2_PKT1_PKS2_PKS1_S9_21rocsparse_index_base_22rocsparse_matrix_type_20rocsparse_fill_mode_23rocsparse_storage_mode_P22rocsparse_data_status_.has_indirect_call, 0
	.section	.AMDGPU.csdata,"",@progbits
; Kernel info:
; codeLenInByte = 932
; TotalNumSgprs: 50
; NumVgprs: 25
; ScratchSize: 0
; MemoryBound: 0
; FloatMode: 240
; IeeeMode: 1
; LDSByteSize: 0 bytes/workgroup (compile time only)
; SGPRBlocks: 6
; VGPRBlocks: 6
; NumSGPRsForWavesPerEU: 50
; NumVGPRsForWavesPerEU: 25
; Occupancy: 9
; WaveLimiterHint : 0
; COMPUTE_PGM_RSRC2:SCRATCH_EN: 0
; COMPUTE_PGM_RSRC2:USER_SGPR: 6
; COMPUTE_PGM_RSRC2:TRAP_HANDLER: 0
; COMPUTE_PGM_RSRC2:TGID_X_EN: 1
; COMPUTE_PGM_RSRC2:TGID_Y_EN: 0
; COMPUTE_PGM_RSRC2:TGID_Z_EN: 0
; COMPUTE_PGM_RSRC2:TIDIG_COMP_CNT: 0
	.section	.text._ZN9rocsparseL23check_matrix_csr_deviceILj256ELj8EfllEEvT3_S1_T2_PKT1_PKS2_PKS1_S9_21rocsparse_index_base_22rocsparse_matrix_type_20rocsparse_fill_mode_23rocsparse_storage_mode_P22rocsparse_data_status_,"axG",@progbits,_ZN9rocsparseL23check_matrix_csr_deviceILj256ELj8EfllEEvT3_S1_T2_PKT1_PKS2_PKS1_S9_21rocsparse_index_base_22rocsparse_matrix_type_20rocsparse_fill_mode_23rocsparse_storage_mode_P22rocsparse_data_status_,comdat
	.globl	_ZN9rocsparseL23check_matrix_csr_deviceILj256ELj8EfllEEvT3_S1_T2_PKT1_PKS2_PKS1_S9_21rocsparse_index_base_22rocsparse_matrix_type_20rocsparse_fill_mode_23rocsparse_storage_mode_P22rocsparse_data_status_ ; -- Begin function _ZN9rocsparseL23check_matrix_csr_deviceILj256ELj8EfllEEvT3_S1_T2_PKT1_PKS2_PKS1_S9_21rocsparse_index_base_22rocsparse_matrix_type_20rocsparse_fill_mode_23rocsparse_storage_mode_P22rocsparse_data_status_
	.p2align	8
	.type	_ZN9rocsparseL23check_matrix_csr_deviceILj256ELj8EfllEEvT3_S1_T2_PKT1_PKS2_PKS1_S9_21rocsparse_index_base_22rocsparse_matrix_type_20rocsparse_fill_mode_23rocsparse_storage_mode_P22rocsparse_data_status_,@function
_ZN9rocsparseL23check_matrix_csr_deviceILj256ELj8EfllEEvT3_S1_T2_PKT1_PKS2_PKS1_S9_21rocsparse_index_base_22rocsparse_matrix_type_20rocsparse_fill_mode_23rocsparse_storage_mode_P22rocsparse_data_status_: ; @_ZN9rocsparseL23check_matrix_csr_deviceILj256ELj8EfllEEvT3_S1_T2_PKT1_PKS2_PKS1_S9_21rocsparse_index_base_22rocsparse_matrix_type_20rocsparse_fill_mode_23rocsparse_storage_mode_P22rocsparse_data_status_
; %bb.0:
	s_load_dwordx4 s[16:19], s[4:5], 0x0
	v_lshl_or_b32 v1, s6, 8, v0
	v_lshrrev_b32_e32 v1, 3, v1
	v_mov_b32_e32 v2, 0
	s_waitcnt lgkmcnt(0)
	v_cmp_gt_i64_e32 vcc, s[16:17], v[1:2]
	s_and_saveexec_b64 s[0:1], vcc
	s_cbranch_execz .LBB63_31
; %bb.1:
	s_load_dwordx2 s[0:1], s[4:5], 0x20
	v_lshlrev_b32_e32 v3, 3, v1
	v_mov_b32_e32 v19, 3
	s_mov_b64 s[10:11], -1
	s_mov_b64 s[8:9], 0
	s_waitcnt lgkmcnt(0)
	global_load_dwordx4 v[7:10], v3, s[0:1]
	s_load_dwordx2 s[0:1], s[0:1], 0x0
	s_waitcnt lgkmcnt(0)
	v_mov_b32_e32 v6, s1
	s_waitcnt vmcnt(0)
	v_subrev_co_u32_e32 v3, vcc, s0, v7
	v_subb_co_u32_e32 v4, vcc, v8, v6, vcc
	v_subrev_co_u32_e32 v5, vcc, s0, v9
	v_subb_co_u32_e32 v6, vcc, v10, v6, vcc
	v_cmp_gt_i64_e64 s[0:1], 0, v[5:6]
	v_cmp_lt_i64_e64 s[2:3], v[9:10], v[7:8]
	v_cmp_lt_i64_e32 vcc, -1, v[3:4]
	s_or_b64 s[0:1], s[0:1], s[2:3]
	s_xor_b64 s[0:1], s[0:1], -1
	s_and_b64 s[0:1], vcc, s[0:1]
	s_and_saveexec_b64 s[6:7], s[0:1]
	s_cbranch_execz .LBB63_29
; %bb.2:
	v_and_b32_e32 v0, 7, v0
	v_add_co_u32_e32 v7, vcc, v3, v0
	v_addc_co_u32_e32 v8, vcc, 0, v4, vcc
	v_cmp_lt_u64_e32 vcc, v[7:8], v[5:6]
	v_mov_b32_e32 v19, 3
	s_and_saveexec_b64 s[16:17], vcc
	s_cbranch_execz .LBB63_28
; %bb.3:
	s_load_dwordx8 s[8:15], s[4:5], 0x28
	s_load_dwordx2 s[0:1], s[4:5], 0x18
	v_lshlrev_b64 v[13:14], 3, v[7:8]
	v_lshlrev_b64 v[11:12], 2, v[7:8]
                                        ; implicit-def: $sgpr24_sgpr25
                                        ; implicit-def: $sgpr26_sgpr27
	s_waitcnt lgkmcnt(0)
	v_mov_b32_e32 v0, s11
	v_add_co_u32_e32 v9, vcc, s10, v13
	v_addc_co_u32_e32 v0, vcc, v0, v14, vcc
	v_add_co_u32_e32 v9, vcc, -8, v9
	v_addc_co_u32_e32 v10, vcc, -1, v0, vcc
	s_cmp_lg_u32 s13, 0
	v_mov_b32_e32 v0, s1
	v_add_co_u32_e32 v11, vcc, s0, v11
	s_cselect_b64 s[20:21], -1, 0
	s_cmp_lg_u32 s14, 0
	v_addc_co_u32_e32 v12, vcc, v0, v12, vcc
	s_cselect_b64 s[22:23], -1, 0
	s_cmp_lg_u32 s15, 0
	v_mov_b32_e32 v0, s9
	v_add_co_u32_e32 v13, vcc, s8, v13
	s_cselect_b64 s[14:15], -1, 0
	v_addc_co_u32_e32 v14, vcc, v0, v14, vcc
	s_mov_b64 s[8:9], 0
	s_mov_b32 s13, 0x7f800000
                                        ; implicit-def: $sgpr10_sgpr11
	s_branch .LBB63_10
.LBB63_4:                               ;   in Loop: Header=BB63_10 Depth=1
	s_or_b64 exec, exec, s[0:1]
	s_orn2_b64 s[42:43], s[2:3], exec
	s_orn2_b64 s[0:1], s[38:39], exec
.LBB63_5:                               ;   in Loop: Header=BB63_10 Depth=1
	s_or_b64 exec, exec, s[40:41]
	s_orn2_b64 s[2:3], s[42:43], exec
	s_orn2_b64 s[0:1], s[0:1], exec
.LBB63_6:                               ;   in Loop: Header=BB63_10 Depth=1
	s_or_b64 exec, exec, s[36:37]
	s_orn2_b64 s[2:3], s[2:3], exec
	s_orn2_b64 s[0:1], s[0:1], exec
.LBB63_7:                               ;   in Loop: Header=BB63_10 Depth=1
	s_or_b64 exec, exec, s[34:35]
	s_orn2_b64 s[2:3], s[2:3], exec
	s_orn2_b64 s[0:1], s[0:1], exec
.LBB63_8:                               ;   in Loop: Header=BB63_10 Depth=1
	s_or_b64 exec, exec, s[30:31]
	s_andn2_b64 s[26:27], s[26:27], exec
	s_and_b64 s[2:3], s[2:3], exec
	s_or_b64 s[26:27], s[26:27], s[2:3]
	s_andn2_b64 s[2:3], s[24:25], exec
	s_and_b64 s[0:1], s[0:1], exec
	s_or_b64 s[24:25], s[2:3], s[0:1]
.LBB63_9:                               ;   in Loop: Header=BB63_10 Depth=1
	s_or_b64 exec, exec, s[28:29]
	s_and_b64 s[0:1], exec, s[24:25]
	s_or_b64 s[8:9], s[0:1], s[8:9]
	s_andn2_b64 s[0:1], s[10:11], exec
	s_and_b64 s[2:3], s[26:27], exec
	s_or_b64 s[10:11], s[0:1], s[2:3]
	s_andn2_b64 exec, exec, s[8:9]
	s_cbranch_execz .LBB63_27
.LBB63_10:                              ; =>This Inner Loop Header: Depth=1
	global_load_dwordx2 v[15:16], v[13:14], off
	v_mov_b32_e32 v19, 4
	s_or_b64 s[26:27], s[26:27], exec
	s_or_b64 s[24:25], s[24:25], exec
	s_waitcnt vmcnt(0)
	v_subrev_co_u32_e32 v17, vcc, s12, v15
	v_subbrev_co_u32_e32 v18, vcc, 0, v16, vcc
	v_cmp_lt_i64_e32 vcc, -1, v[17:18]
	v_cmp_gt_i64_e64 s[0:1], s[18:19], v[17:18]
	s_and_b64 s[0:1], vcc, s[0:1]
	s_and_saveexec_b64 s[28:29], s[0:1]
	s_cbranch_execz .LBB63_9
; %bb.11:                               ;   in Loop: Header=BB63_10 Depth=1
	v_cmp_le_i64_e64 s[38:39], v[7:8], v[3:4]
	v_cmp_gt_i64_e32 vcc, v[7:8], v[3:4]
	v_mov_b32_e32 v19, 4
	s_mov_b64 s[34:35], s[38:39]
	s_and_saveexec_b64 s[30:31], vcc
	s_cbranch_execz .LBB63_13
; %bb.12:                               ;   in Loop: Header=BB63_10 Depth=1
	global_load_dwordx4 v[19:22], v[9:10], off
	s_waitcnt vmcnt(0)
	v_subrev_co_u32_e32 v23, vcc, s12, v19
	v_subbrev_co_u32_e32 v24, vcc, 0, v20, vcc
	v_cmp_lt_i64_e64 s[0:1], -1, v[23:24]
	v_cmp_gt_i64_e64 s[2:3], s[18:19], v[23:24]
	v_cmp_ne_u64_e32 vcc, v[21:22], v[19:20]
	s_and_b64 s[0:1], s[0:1], s[2:3]
	s_xor_b64 s[0:1], s[0:1], -1
	s_or_b64 s[0:1], vcc, s[0:1]
	s_andn2_b64 s[2:3], s[38:39], exec
	s_and_b64 s[0:1], s[0:1], exec
	v_mov_b32_e32 v19, 5
	s_or_b64 s[34:35], s[2:3], s[0:1]
.LBB63_13:                              ;   in Loop: Header=BB63_10 Depth=1
	s_or_b64 exec, exec, s[30:31]
	s_mov_b64 s[0:1], -1
	s_mov_b64 s[2:3], -1
	s_and_saveexec_b64 s[30:31], s[34:35]
	s_cbranch_execz .LBB63_8
; %bb.14:                               ;   in Loop: Header=BB63_10 Depth=1
	global_load_dword v0, v[11:12], off
	v_mov_b32_e32 v19, 1
	s_waitcnt vmcnt(0)
	v_cmp_neq_f32_e32 vcc, s13, v0
	s_and_saveexec_b64 s[34:35], vcc
	s_cbranch_execz .LBB63_7
; %bb.15:                               ;   in Loop: Header=BB63_10 Depth=1
	v_cmp_o_f32_e32 vcc, v0, v0
	v_mov_b32_e32 v19, 2
	s_and_saveexec_b64 s[36:37], vcc
	s_cbranch_execz .LBB63_6
; %bb.16:                               ;   in Loop: Header=BB63_10 Depth=1
	s_and_b64 vcc, exec, s[20:21]
	s_cbranch_vccz .LBB63_19
; %bb.17:                               ;   in Loop: Header=BB63_10 Depth=1
	s_and_b64 vcc, exec, s[22:23]
	s_cbranch_vccz .LBB63_20
; %bb.18:                               ;   in Loop: Header=BB63_10 Depth=1
	v_cmp_ge_i64_e32 vcc, v[17:18], v[1:2]
	s_mov_b32 s33, 7
	s_and_b64 s[2:3], vcc, exec
	s_cbranch_execz .LBB63_21
	s_branch .LBB63_22
.LBB63_19:                              ;   in Loop: Header=BB63_10 Depth=1
	s_mov_b32 s33, 2
	s_branch .LBB63_22
.LBB63_20:                              ;   in Loop: Header=BB63_10 Depth=1
	s_mov_b64 s[2:3], 0
	s_mov_b32 s33, 2
.LBB63_21:                              ;   in Loop: Header=BB63_10 Depth=1
	v_cmp_le_i64_e32 vcc, v[17:18], v[1:2]
	s_andn2_b64 s[2:3], s[2:3], exec
	s_and_b64 s[40:41], vcc, exec
	s_mov_b32 s33, 7
	s_or_b64 s[2:3], s[2:3], s[40:41]
.LBB63_22:                              ;   in Loop: Header=BB63_10 Depth=1
	v_mov_b32_e32 v19, s33
	s_mov_b64 s[42:43], -1
	s_and_saveexec_b64 s[40:41], s[2:3]
	s_cbranch_execz .LBB63_5
; %bb.23:                               ;   in Loop: Header=BB63_10 Depth=1
	s_nor_b64 s[0:1], s[14:15], s[38:39]
	s_mov_b64 s[38:39], -1
	v_mov_b32_e32 v19, s33
	s_mov_b64 s[44:45], -1
	s_and_saveexec_b64 s[42:43], s[0:1]
	s_cbranch_execz .LBB63_25
; %bb.24:                               ;   in Loop: Header=BB63_10 Depth=1
	global_load_dwordx2 v[17:18], v[13:14], off offset:-8
	s_waitcnt vmcnt(0)
	v_subrev_co_u32_e32 v19, vcc, s12, v17
	v_subbrev_co_u32_e32 v20, vcc, 0, v18, vcc
	v_cmp_lt_i64_e32 vcc, -1, v[19:20]
	v_cmp_gt_i64_e64 s[0:1], s[18:19], v[19:20]
	v_cmp_gt_i64_e64 s[2:3], v[15:16], v[17:18]
	s_and_b64 s[0:1], vcc, s[0:1]
	s_xor_b64 s[0:1], s[0:1], -1
	s_or_b64 s[0:1], s[2:3], s[0:1]
	v_mov_b32_e32 v19, 6
	s_orn2_b64 s[44:45], s[0:1], exec
.LBB63_25:                              ;   in Loop: Header=BB63_10 Depth=1
	s_or_b64 exec, exec, s[42:43]
	s_mov_b64 s[2:3], -1
	s_and_saveexec_b64 s[0:1], s[44:45]
	s_cbranch_execz .LBB63_4
; %bb.26:                               ;   in Loop: Header=BB63_10 Depth=1
	v_add_co_u32_e32 v7, vcc, 8, v7
	v_addc_co_u32_e32 v8, vcc, 0, v8, vcc
	v_add_co_u32_e32 v9, vcc, 64, v9
	v_addc_co_u32_e32 v10, vcc, 0, v10, vcc
	;; [unrolled: 2-line block ×4, first 2 shown]
	v_cmp_ge_i64_e32 vcc, v[7:8], v[5:6]
	s_xor_b64 s[2:3], exec, -1
	s_orn2_b64 s[38:39], vcc, exec
	s_branch .LBB63_4
.LBB63_27:
	s_or_b64 exec, exec, s[8:9]
	s_and_b64 s[8:9], s[10:11], exec
.LBB63_28:
	s_or_b64 exec, exec, s[16:17]
	s_orn2_b64 s[10:11], s[8:9], exec
.LBB63_29:
	s_or_b64 exec, exec, s[6:7]
	s_and_b64 exec, exec, s[10:11]
	s_cbranch_execz .LBB63_31
; %bb.30:
	s_load_dwordx2 s[0:1], s[4:5], 0x48
	v_mov_b32_e32 v0, 0
	s_waitcnt lgkmcnt(0)
	global_store_dword v0, v19, s[0:1]
.LBB63_31:
	s_endpgm
	.section	.rodata,"a",@progbits
	.p2align	6, 0x0
	.amdhsa_kernel _ZN9rocsparseL23check_matrix_csr_deviceILj256ELj8EfllEEvT3_S1_T2_PKT1_PKS2_PKS1_S9_21rocsparse_index_base_22rocsparse_matrix_type_20rocsparse_fill_mode_23rocsparse_storage_mode_P22rocsparse_data_status_
		.amdhsa_group_segment_fixed_size 0
		.amdhsa_private_segment_fixed_size 0
		.amdhsa_kernarg_size 80
		.amdhsa_user_sgpr_count 6
		.amdhsa_user_sgpr_private_segment_buffer 1
		.amdhsa_user_sgpr_dispatch_ptr 0
		.amdhsa_user_sgpr_queue_ptr 0
		.amdhsa_user_sgpr_kernarg_segment_ptr 1
		.amdhsa_user_sgpr_dispatch_id 0
		.amdhsa_user_sgpr_flat_scratch_init 0
		.amdhsa_user_sgpr_private_segment_size 0
		.amdhsa_uses_dynamic_stack 0
		.amdhsa_system_sgpr_private_segment_wavefront_offset 0
		.amdhsa_system_sgpr_workgroup_id_x 1
		.amdhsa_system_sgpr_workgroup_id_y 0
		.amdhsa_system_sgpr_workgroup_id_z 0
		.amdhsa_system_sgpr_workgroup_info 0
		.amdhsa_system_vgpr_workitem_id 0
		.amdhsa_next_free_vgpr 25
		.amdhsa_next_free_sgpr 46
		.amdhsa_reserve_vcc 1
		.amdhsa_reserve_flat_scratch 0
		.amdhsa_float_round_mode_32 0
		.amdhsa_float_round_mode_16_64 0
		.amdhsa_float_denorm_mode_32 3
		.amdhsa_float_denorm_mode_16_64 3
		.amdhsa_dx10_clamp 1
		.amdhsa_ieee_mode 1
		.amdhsa_fp16_overflow 0
		.amdhsa_exception_fp_ieee_invalid_op 0
		.amdhsa_exception_fp_denorm_src 0
		.amdhsa_exception_fp_ieee_div_zero 0
		.amdhsa_exception_fp_ieee_overflow 0
		.amdhsa_exception_fp_ieee_underflow 0
		.amdhsa_exception_fp_ieee_inexact 0
		.amdhsa_exception_int_div_zero 0
	.end_amdhsa_kernel
	.section	.text._ZN9rocsparseL23check_matrix_csr_deviceILj256ELj8EfllEEvT3_S1_T2_PKT1_PKS2_PKS1_S9_21rocsparse_index_base_22rocsparse_matrix_type_20rocsparse_fill_mode_23rocsparse_storage_mode_P22rocsparse_data_status_,"axG",@progbits,_ZN9rocsparseL23check_matrix_csr_deviceILj256ELj8EfllEEvT3_S1_T2_PKT1_PKS2_PKS1_S9_21rocsparse_index_base_22rocsparse_matrix_type_20rocsparse_fill_mode_23rocsparse_storage_mode_P22rocsparse_data_status_,comdat
.Lfunc_end63:
	.size	_ZN9rocsparseL23check_matrix_csr_deviceILj256ELj8EfllEEvT3_S1_T2_PKT1_PKS2_PKS1_S9_21rocsparse_index_base_22rocsparse_matrix_type_20rocsparse_fill_mode_23rocsparse_storage_mode_P22rocsparse_data_status_, .Lfunc_end63-_ZN9rocsparseL23check_matrix_csr_deviceILj256ELj8EfllEEvT3_S1_T2_PKT1_PKS2_PKS1_S9_21rocsparse_index_base_22rocsparse_matrix_type_20rocsparse_fill_mode_23rocsparse_storage_mode_P22rocsparse_data_status_
                                        ; -- End function
	.set _ZN9rocsparseL23check_matrix_csr_deviceILj256ELj8EfllEEvT3_S1_T2_PKT1_PKS2_PKS1_S9_21rocsparse_index_base_22rocsparse_matrix_type_20rocsparse_fill_mode_23rocsparse_storage_mode_P22rocsparse_data_status_.num_vgpr, 25
	.set _ZN9rocsparseL23check_matrix_csr_deviceILj256ELj8EfllEEvT3_S1_T2_PKT1_PKS2_PKS1_S9_21rocsparse_index_base_22rocsparse_matrix_type_20rocsparse_fill_mode_23rocsparse_storage_mode_P22rocsparse_data_status_.num_agpr, 0
	.set _ZN9rocsparseL23check_matrix_csr_deviceILj256ELj8EfllEEvT3_S1_T2_PKT1_PKS2_PKS1_S9_21rocsparse_index_base_22rocsparse_matrix_type_20rocsparse_fill_mode_23rocsparse_storage_mode_P22rocsparse_data_status_.numbered_sgpr, 46
	.set _ZN9rocsparseL23check_matrix_csr_deviceILj256ELj8EfllEEvT3_S1_T2_PKT1_PKS2_PKS1_S9_21rocsparse_index_base_22rocsparse_matrix_type_20rocsparse_fill_mode_23rocsparse_storage_mode_P22rocsparse_data_status_.num_named_barrier, 0
	.set _ZN9rocsparseL23check_matrix_csr_deviceILj256ELj8EfllEEvT3_S1_T2_PKT1_PKS2_PKS1_S9_21rocsparse_index_base_22rocsparse_matrix_type_20rocsparse_fill_mode_23rocsparse_storage_mode_P22rocsparse_data_status_.private_seg_size, 0
	.set _ZN9rocsparseL23check_matrix_csr_deviceILj256ELj8EfllEEvT3_S1_T2_PKT1_PKS2_PKS1_S9_21rocsparse_index_base_22rocsparse_matrix_type_20rocsparse_fill_mode_23rocsparse_storage_mode_P22rocsparse_data_status_.uses_vcc, 1
	.set _ZN9rocsparseL23check_matrix_csr_deviceILj256ELj8EfllEEvT3_S1_T2_PKT1_PKS2_PKS1_S9_21rocsparse_index_base_22rocsparse_matrix_type_20rocsparse_fill_mode_23rocsparse_storage_mode_P22rocsparse_data_status_.uses_flat_scratch, 0
	.set _ZN9rocsparseL23check_matrix_csr_deviceILj256ELj8EfllEEvT3_S1_T2_PKT1_PKS2_PKS1_S9_21rocsparse_index_base_22rocsparse_matrix_type_20rocsparse_fill_mode_23rocsparse_storage_mode_P22rocsparse_data_status_.has_dyn_sized_stack, 0
	.set _ZN9rocsparseL23check_matrix_csr_deviceILj256ELj8EfllEEvT3_S1_T2_PKT1_PKS2_PKS1_S9_21rocsparse_index_base_22rocsparse_matrix_type_20rocsparse_fill_mode_23rocsparse_storage_mode_P22rocsparse_data_status_.has_recursion, 0
	.set _ZN9rocsparseL23check_matrix_csr_deviceILj256ELj8EfllEEvT3_S1_T2_PKT1_PKS2_PKS1_S9_21rocsparse_index_base_22rocsparse_matrix_type_20rocsparse_fill_mode_23rocsparse_storage_mode_P22rocsparse_data_status_.has_indirect_call, 0
	.section	.AMDGPU.csdata,"",@progbits
; Kernel info:
; codeLenInByte = 916
; TotalNumSgprs: 50
; NumVgprs: 25
; ScratchSize: 0
; MemoryBound: 0
; FloatMode: 240
; IeeeMode: 1
; LDSByteSize: 0 bytes/workgroup (compile time only)
; SGPRBlocks: 6
; VGPRBlocks: 6
; NumSGPRsForWavesPerEU: 50
; NumVGPRsForWavesPerEU: 25
; Occupancy: 9
; WaveLimiterHint : 0
; COMPUTE_PGM_RSRC2:SCRATCH_EN: 0
; COMPUTE_PGM_RSRC2:USER_SGPR: 6
; COMPUTE_PGM_RSRC2:TRAP_HANDLER: 0
; COMPUTE_PGM_RSRC2:TGID_X_EN: 1
; COMPUTE_PGM_RSRC2:TGID_Y_EN: 0
; COMPUTE_PGM_RSRC2:TGID_Z_EN: 0
; COMPUTE_PGM_RSRC2:TIDIG_COMP_CNT: 0
	.section	.text._ZN9rocsparseL23check_matrix_csr_deviceILj256ELj16EfllEEvT3_S1_T2_PKT1_PKS2_PKS1_S9_21rocsparse_index_base_22rocsparse_matrix_type_20rocsparse_fill_mode_23rocsparse_storage_mode_P22rocsparse_data_status_,"axG",@progbits,_ZN9rocsparseL23check_matrix_csr_deviceILj256ELj16EfllEEvT3_S1_T2_PKT1_PKS2_PKS1_S9_21rocsparse_index_base_22rocsparse_matrix_type_20rocsparse_fill_mode_23rocsparse_storage_mode_P22rocsparse_data_status_,comdat
	.globl	_ZN9rocsparseL23check_matrix_csr_deviceILj256ELj16EfllEEvT3_S1_T2_PKT1_PKS2_PKS1_S9_21rocsparse_index_base_22rocsparse_matrix_type_20rocsparse_fill_mode_23rocsparse_storage_mode_P22rocsparse_data_status_ ; -- Begin function _ZN9rocsparseL23check_matrix_csr_deviceILj256ELj16EfllEEvT3_S1_T2_PKT1_PKS2_PKS1_S9_21rocsparse_index_base_22rocsparse_matrix_type_20rocsparse_fill_mode_23rocsparse_storage_mode_P22rocsparse_data_status_
	.p2align	8
	.type	_ZN9rocsparseL23check_matrix_csr_deviceILj256ELj16EfllEEvT3_S1_T2_PKT1_PKS2_PKS1_S9_21rocsparse_index_base_22rocsparse_matrix_type_20rocsparse_fill_mode_23rocsparse_storage_mode_P22rocsparse_data_status_,@function
_ZN9rocsparseL23check_matrix_csr_deviceILj256ELj16EfllEEvT3_S1_T2_PKT1_PKS2_PKS1_S9_21rocsparse_index_base_22rocsparse_matrix_type_20rocsparse_fill_mode_23rocsparse_storage_mode_P22rocsparse_data_status_: ; @_ZN9rocsparseL23check_matrix_csr_deviceILj256ELj16EfllEEvT3_S1_T2_PKT1_PKS2_PKS1_S9_21rocsparse_index_base_22rocsparse_matrix_type_20rocsparse_fill_mode_23rocsparse_storage_mode_P22rocsparse_data_status_
; %bb.0:
	s_load_dwordx4 s[16:19], s[4:5], 0x0
	v_lshl_or_b32 v1, s6, 8, v0
	v_lshrrev_b32_e32 v1, 4, v1
	v_mov_b32_e32 v2, 0
	s_waitcnt lgkmcnt(0)
	v_cmp_gt_i64_e32 vcc, s[16:17], v[1:2]
	s_and_saveexec_b64 s[0:1], vcc
	s_cbranch_execz .LBB64_31
; %bb.1:
	s_load_dwordx2 s[0:1], s[4:5], 0x20
	v_lshlrev_b32_e32 v3, 3, v1
	v_mov_b32_e32 v19, 3
	s_mov_b64 s[10:11], -1
	s_mov_b64 s[8:9], 0
	s_waitcnt lgkmcnt(0)
	global_load_dwordx4 v[7:10], v3, s[0:1]
	s_load_dwordx2 s[0:1], s[0:1], 0x0
	s_waitcnt lgkmcnt(0)
	v_mov_b32_e32 v6, s1
	s_waitcnt vmcnt(0)
	v_subrev_co_u32_e32 v3, vcc, s0, v7
	v_subb_co_u32_e32 v4, vcc, v8, v6, vcc
	v_subrev_co_u32_e32 v5, vcc, s0, v9
	v_subb_co_u32_e32 v6, vcc, v10, v6, vcc
	v_cmp_gt_i64_e64 s[0:1], 0, v[5:6]
	v_cmp_lt_i64_e64 s[2:3], v[9:10], v[7:8]
	v_cmp_lt_i64_e32 vcc, -1, v[3:4]
	s_or_b64 s[0:1], s[0:1], s[2:3]
	s_xor_b64 s[0:1], s[0:1], -1
	s_and_b64 s[0:1], vcc, s[0:1]
	s_and_saveexec_b64 s[6:7], s[0:1]
	s_cbranch_execz .LBB64_29
; %bb.2:
	v_and_b32_e32 v0, 15, v0
	v_add_co_u32_e32 v7, vcc, v3, v0
	v_addc_co_u32_e32 v8, vcc, 0, v4, vcc
	v_cmp_lt_u64_e32 vcc, v[7:8], v[5:6]
	v_mov_b32_e32 v19, 3
	s_and_saveexec_b64 s[16:17], vcc
	s_cbranch_execz .LBB64_28
; %bb.3:
	s_load_dwordx8 s[8:15], s[4:5], 0x28
	s_load_dwordx2 s[0:1], s[4:5], 0x18
	v_lshlrev_b64 v[13:14], 3, v[7:8]
	v_lshlrev_b64 v[11:12], 2, v[7:8]
                                        ; implicit-def: $sgpr24_sgpr25
                                        ; implicit-def: $sgpr26_sgpr27
	s_waitcnt lgkmcnt(0)
	v_mov_b32_e32 v0, s11
	v_add_co_u32_e32 v9, vcc, s10, v13
	v_addc_co_u32_e32 v0, vcc, v0, v14, vcc
	v_add_co_u32_e32 v9, vcc, -8, v9
	v_addc_co_u32_e32 v10, vcc, -1, v0, vcc
	s_cmp_lg_u32 s13, 0
	v_mov_b32_e32 v0, s1
	v_add_co_u32_e32 v11, vcc, s0, v11
	s_cselect_b64 s[20:21], -1, 0
	s_cmp_lg_u32 s14, 0
	v_addc_co_u32_e32 v12, vcc, v0, v12, vcc
	s_cselect_b64 s[22:23], -1, 0
	s_cmp_lg_u32 s15, 0
	v_mov_b32_e32 v0, s9
	v_add_co_u32_e32 v13, vcc, s8, v13
	s_cselect_b64 s[14:15], -1, 0
	v_addc_co_u32_e32 v14, vcc, v0, v14, vcc
	s_mov_b64 s[8:9], 0
	s_mov_b32 s13, 0x7f800000
                                        ; implicit-def: $sgpr10_sgpr11
	s_branch .LBB64_10
.LBB64_4:                               ;   in Loop: Header=BB64_10 Depth=1
	s_or_b64 exec, exec, s[0:1]
	s_orn2_b64 s[42:43], s[2:3], exec
	s_orn2_b64 s[0:1], s[38:39], exec
.LBB64_5:                               ;   in Loop: Header=BB64_10 Depth=1
	s_or_b64 exec, exec, s[40:41]
	s_orn2_b64 s[2:3], s[42:43], exec
	s_orn2_b64 s[0:1], s[0:1], exec
.LBB64_6:                               ;   in Loop: Header=BB64_10 Depth=1
	s_or_b64 exec, exec, s[36:37]
	s_orn2_b64 s[2:3], s[2:3], exec
	s_orn2_b64 s[0:1], s[0:1], exec
.LBB64_7:                               ;   in Loop: Header=BB64_10 Depth=1
	s_or_b64 exec, exec, s[34:35]
	s_orn2_b64 s[2:3], s[2:3], exec
	s_orn2_b64 s[0:1], s[0:1], exec
.LBB64_8:                               ;   in Loop: Header=BB64_10 Depth=1
	s_or_b64 exec, exec, s[30:31]
	s_andn2_b64 s[26:27], s[26:27], exec
	s_and_b64 s[2:3], s[2:3], exec
	s_or_b64 s[26:27], s[26:27], s[2:3]
	s_andn2_b64 s[2:3], s[24:25], exec
	s_and_b64 s[0:1], s[0:1], exec
	s_or_b64 s[24:25], s[2:3], s[0:1]
.LBB64_9:                               ;   in Loop: Header=BB64_10 Depth=1
	s_or_b64 exec, exec, s[28:29]
	s_and_b64 s[0:1], exec, s[24:25]
	s_or_b64 s[8:9], s[0:1], s[8:9]
	s_andn2_b64 s[0:1], s[10:11], exec
	s_and_b64 s[2:3], s[26:27], exec
	s_or_b64 s[10:11], s[0:1], s[2:3]
	s_andn2_b64 exec, exec, s[8:9]
	s_cbranch_execz .LBB64_27
.LBB64_10:                              ; =>This Inner Loop Header: Depth=1
	global_load_dwordx2 v[15:16], v[13:14], off
	v_mov_b32_e32 v19, 4
	s_or_b64 s[26:27], s[26:27], exec
	s_or_b64 s[24:25], s[24:25], exec
	s_waitcnt vmcnt(0)
	v_subrev_co_u32_e32 v17, vcc, s12, v15
	v_subbrev_co_u32_e32 v18, vcc, 0, v16, vcc
	v_cmp_lt_i64_e32 vcc, -1, v[17:18]
	v_cmp_gt_i64_e64 s[0:1], s[18:19], v[17:18]
	s_and_b64 s[0:1], vcc, s[0:1]
	s_and_saveexec_b64 s[28:29], s[0:1]
	s_cbranch_execz .LBB64_9
; %bb.11:                               ;   in Loop: Header=BB64_10 Depth=1
	v_cmp_le_i64_e64 s[38:39], v[7:8], v[3:4]
	v_cmp_gt_i64_e32 vcc, v[7:8], v[3:4]
	v_mov_b32_e32 v19, 4
	s_mov_b64 s[34:35], s[38:39]
	s_and_saveexec_b64 s[30:31], vcc
	s_cbranch_execz .LBB64_13
; %bb.12:                               ;   in Loop: Header=BB64_10 Depth=1
	global_load_dwordx4 v[19:22], v[9:10], off
	s_waitcnt vmcnt(0)
	v_subrev_co_u32_e32 v23, vcc, s12, v19
	v_subbrev_co_u32_e32 v24, vcc, 0, v20, vcc
	v_cmp_lt_i64_e64 s[0:1], -1, v[23:24]
	v_cmp_gt_i64_e64 s[2:3], s[18:19], v[23:24]
	v_cmp_ne_u64_e32 vcc, v[21:22], v[19:20]
	s_and_b64 s[0:1], s[0:1], s[2:3]
	s_xor_b64 s[0:1], s[0:1], -1
	s_or_b64 s[0:1], vcc, s[0:1]
	s_andn2_b64 s[2:3], s[38:39], exec
	s_and_b64 s[0:1], s[0:1], exec
	v_mov_b32_e32 v19, 5
	s_or_b64 s[34:35], s[2:3], s[0:1]
.LBB64_13:                              ;   in Loop: Header=BB64_10 Depth=1
	s_or_b64 exec, exec, s[30:31]
	s_mov_b64 s[0:1], -1
	s_mov_b64 s[2:3], -1
	s_and_saveexec_b64 s[30:31], s[34:35]
	s_cbranch_execz .LBB64_8
; %bb.14:                               ;   in Loop: Header=BB64_10 Depth=1
	global_load_dword v0, v[11:12], off
	v_mov_b32_e32 v19, 1
	s_waitcnt vmcnt(0)
	v_cmp_neq_f32_e32 vcc, s13, v0
	s_and_saveexec_b64 s[34:35], vcc
	s_cbranch_execz .LBB64_7
; %bb.15:                               ;   in Loop: Header=BB64_10 Depth=1
	v_cmp_o_f32_e32 vcc, v0, v0
	v_mov_b32_e32 v19, 2
	s_and_saveexec_b64 s[36:37], vcc
	s_cbranch_execz .LBB64_6
; %bb.16:                               ;   in Loop: Header=BB64_10 Depth=1
	s_and_b64 vcc, exec, s[20:21]
	s_cbranch_vccz .LBB64_19
; %bb.17:                               ;   in Loop: Header=BB64_10 Depth=1
	s_and_b64 vcc, exec, s[22:23]
	s_cbranch_vccz .LBB64_20
; %bb.18:                               ;   in Loop: Header=BB64_10 Depth=1
	v_cmp_ge_i64_e32 vcc, v[17:18], v[1:2]
	s_mov_b32 s33, 7
	s_and_b64 s[2:3], vcc, exec
	s_cbranch_execz .LBB64_21
	s_branch .LBB64_22
.LBB64_19:                              ;   in Loop: Header=BB64_10 Depth=1
	s_mov_b32 s33, 2
	s_branch .LBB64_22
.LBB64_20:                              ;   in Loop: Header=BB64_10 Depth=1
	s_mov_b64 s[2:3], 0
	s_mov_b32 s33, 2
.LBB64_21:                              ;   in Loop: Header=BB64_10 Depth=1
	v_cmp_le_i64_e32 vcc, v[17:18], v[1:2]
	s_andn2_b64 s[2:3], s[2:3], exec
	s_and_b64 s[40:41], vcc, exec
	s_mov_b32 s33, 7
	s_or_b64 s[2:3], s[2:3], s[40:41]
.LBB64_22:                              ;   in Loop: Header=BB64_10 Depth=1
	v_mov_b32_e32 v19, s33
	s_mov_b64 s[42:43], -1
	s_and_saveexec_b64 s[40:41], s[2:3]
	s_cbranch_execz .LBB64_5
; %bb.23:                               ;   in Loop: Header=BB64_10 Depth=1
	s_nor_b64 s[0:1], s[14:15], s[38:39]
	s_mov_b64 s[38:39], -1
	v_mov_b32_e32 v19, s33
	s_mov_b64 s[44:45], -1
	s_and_saveexec_b64 s[42:43], s[0:1]
	s_cbranch_execz .LBB64_25
; %bb.24:                               ;   in Loop: Header=BB64_10 Depth=1
	global_load_dwordx2 v[17:18], v[13:14], off offset:-8
	s_waitcnt vmcnt(0)
	v_subrev_co_u32_e32 v19, vcc, s12, v17
	v_subbrev_co_u32_e32 v20, vcc, 0, v18, vcc
	v_cmp_lt_i64_e32 vcc, -1, v[19:20]
	v_cmp_gt_i64_e64 s[0:1], s[18:19], v[19:20]
	v_cmp_gt_i64_e64 s[2:3], v[15:16], v[17:18]
	s_and_b64 s[0:1], vcc, s[0:1]
	s_xor_b64 s[0:1], s[0:1], -1
	s_or_b64 s[0:1], s[2:3], s[0:1]
	v_mov_b32_e32 v19, 6
	s_orn2_b64 s[44:45], s[0:1], exec
.LBB64_25:                              ;   in Loop: Header=BB64_10 Depth=1
	s_or_b64 exec, exec, s[42:43]
	s_mov_b64 s[2:3], -1
	s_and_saveexec_b64 s[0:1], s[44:45]
	s_cbranch_execz .LBB64_4
; %bb.26:                               ;   in Loop: Header=BB64_10 Depth=1
	v_add_co_u32_e32 v7, vcc, 16, v7
	v_addc_co_u32_e32 v8, vcc, 0, v8, vcc
	v_add_co_u32_e32 v9, vcc, 0x80, v9
	v_addc_co_u32_e32 v10, vcc, 0, v10, vcc
	;; [unrolled: 2-line block ×4, first 2 shown]
	v_cmp_ge_i64_e32 vcc, v[7:8], v[5:6]
	s_xor_b64 s[2:3], exec, -1
	s_orn2_b64 s[38:39], vcc, exec
	s_branch .LBB64_4
.LBB64_27:
	s_or_b64 exec, exec, s[8:9]
	s_and_b64 s[8:9], s[10:11], exec
.LBB64_28:
	s_or_b64 exec, exec, s[16:17]
	s_orn2_b64 s[10:11], s[8:9], exec
.LBB64_29:
	s_or_b64 exec, exec, s[6:7]
	s_and_b64 exec, exec, s[10:11]
	s_cbranch_execz .LBB64_31
; %bb.30:
	s_load_dwordx2 s[0:1], s[4:5], 0x48
	v_mov_b32_e32 v0, 0
	s_waitcnt lgkmcnt(0)
	global_store_dword v0, v19, s[0:1]
.LBB64_31:
	s_endpgm
	.section	.rodata,"a",@progbits
	.p2align	6, 0x0
	.amdhsa_kernel _ZN9rocsparseL23check_matrix_csr_deviceILj256ELj16EfllEEvT3_S1_T2_PKT1_PKS2_PKS1_S9_21rocsparse_index_base_22rocsparse_matrix_type_20rocsparse_fill_mode_23rocsparse_storage_mode_P22rocsparse_data_status_
		.amdhsa_group_segment_fixed_size 0
		.amdhsa_private_segment_fixed_size 0
		.amdhsa_kernarg_size 80
		.amdhsa_user_sgpr_count 6
		.amdhsa_user_sgpr_private_segment_buffer 1
		.amdhsa_user_sgpr_dispatch_ptr 0
		.amdhsa_user_sgpr_queue_ptr 0
		.amdhsa_user_sgpr_kernarg_segment_ptr 1
		.amdhsa_user_sgpr_dispatch_id 0
		.amdhsa_user_sgpr_flat_scratch_init 0
		.amdhsa_user_sgpr_private_segment_size 0
		.amdhsa_uses_dynamic_stack 0
		.amdhsa_system_sgpr_private_segment_wavefront_offset 0
		.amdhsa_system_sgpr_workgroup_id_x 1
		.amdhsa_system_sgpr_workgroup_id_y 0
		.amdhsa_system_sgpr_workgroup_id_z 0
		.amdhsa_system_sgpr_workgroup_info 0
		.amdhsa_system_vgpr_workitem_id 0
		.amdhsa_next_free_vgpr 25
		.amdhsa_next_free_sgpr 46
		.amdhsa_reserve_vcc 1
		.amdhsa_reserve_flat_scratch 0
		.amdhsa_float_round_mode_32 0
		.amdhsa_float_round_mode_16_64 0
		.amdhsa_float_denorm_mode_32 3
		.amdhsa_float_denorm_mode_16_64 3
		.amdhsa_dx10_clamp 1
		.amdhsa_ieee_mode 1
		.amdhsa_fp16_overflow 0
		.amdhsa_exception_fp_ieee_invalid_op 0
		.amdhsa_exception_fp_denorm_src 0
		.amdhsa_exception_fp_ieee_div_zero 0
		.amdhsa_exception_fp_ieee_overflow 0
		.amdhsa_exception_fp_ieee_underflow 0
		.amdhsa_exception_fp_ieee_inexact 0
		.amdhsa_exception_int_div_zero 0
	.end_amdhsa_kernel
	.section	.text._ZN9rocsparseL23check_matrix_csr_deviceILj256ELj16EfllEEvT3_S1_T2_PKT1_PKS2_PKS1_S9_21rocsparse_index_base_22rocsparse_matrix_type_20rocsparse_fill_mode_23rocsparse_storage_mode_P22rocsparse_data_status_,"axG",@progbits,_ZN9rocsparseL23check_matrix_csr_deviceILj256ELj16EfllEEvT3_S1_T2_PKT1_PKS2_PKS1_S9_21rocsparse_index_base_22rocsparse_matrix_type_20rocsparse_fill_mode_23rocsparse_storage_mode_P22rocsparse_data_status_,comdat
.Lfunc_end64:
	.size	_ZN9rocsparseL23check_matrix_csr_deviceILj256ELj16EfllEEvT3_S1_T2_PKT1_PKS2_PKS1_S9_21rocsparse_index_base_22rocsparse_matrix_type_20rocsparse_fill_mode_23rocsparse_storage_mode_P22rocsparse_data_status_, .Lfunc_end64-_ZN9rocsparseL23check_matrix_csr_deviceILj256ELj16EfllEEvT3_S1_T2_PKT1_PKS2_PKS1_S9_21rocsparse_index_base_22rocsparse_matrix_type_20rocsparse_fill_mode_23rocsparse_storage_mode_P22rocsparse_data_status_
                                        ; -- End function
	.set _ZN9rocsparseL23check_matrix_csr_deviceILj256ELj16EfllEEvT3_S1_T2_PKT1_PKS2_PKS1_S9_21rocsparse_index_base_22rocsparse_matrix_type_20rocsparse_fill_mode_23rocsparse_storage_mode_P22rocsparse_data_status_.num_vgpr, 25
	.set _ZN9rocsparseL23check_matrix_csr_deviceILj256ELj16EfllEEvT3_S1_T2_PKT1_PKS2_PKS1_S9_21rocsparse_index_base_22rocsparse_matrix_type_20rocsparse_fill_mode_23rocsparse_storage_mode_P22rocsparse_data_status_.num_agpr, 0
	.set _ZN9rocsparseL23check_matrix_csr_deviceILj256ELj16EfllEEvT3_S1_T2_PKT1_PKS2_PKS1_S9_21rocsparse_index_base_22rocsparse_matrix_type_20rocsparse_fill_mode_23rocsparse_storage_mode_P22rocsparse_data_status_.numbered_sgpr, 46
	.set _ZN9rocsparseL23check_matrix_csr_deviceILj256ELj16EfllEEvT3_S1_T2_PKT1_PKS2_PKS1_S9_21rocsparse_index_base_22rocsparse_matrix_type_20rocsparse_fill_mode_23rocsparse_storage_mode_P22rocsparse_data_status_.num_named_barrier, 0
	.set _ZN9rocsparseL23check_matrix_csr_deviceILj256ELj16EfllEEvT3_S1_T2_PKT1_PKS2_PKS1_S9_21rocsparse_index_base_22rocsparse_matrix_type_20rocsparse_fill_mode_23rocsparse_storage_mode_P22rocsparse_data_status_.private_seg_size, 0
	.set _ZN9rocsparseL23check_matrix_csr_deviceILj256ELj16EfllEEvT3_S1_T2_PKT1_PKS2_PKS1_S9_21rocsparse_index_base_22rocsparse_matrix_type_20rocsparse_fill_mode_23rocsparse_storage_mode_P22rocsparse_data_status_.uses_vcc, 1
	.set _ZN9rocsparseL23check_matrix_csr_deviceILj256ELj16EfllEEvT3_S1_T2_PKT1_PKS2_PKS1_S9_21rocsparse_index_base_22rocsparse_matrix_type_20rocsparse_fill_mode_23rocsparse_storage_mode_P22rocsparse_data_status_.uses_flat_scratch, 0
	.set _ZN9rocsparseL23check_matrix_csr_deviceILj256ELj16EfllEEvT3_S1_T2_PKT1_PKS2_PKS1_S9_21rocsparse_index_base_22rocsparse_matrix_type_20rocsparse_fill_mode_23rocsparse_storage_mode_P22rocsparse_data_status_.has_dyn_sized_stack, 0
	.set _ZN9rocsparseL23check_matrix_csr_deviceILj256ELj16EfllEEvT3_S1_T2_PKT1_PKS2_PKS1_S9_21rocsparse_index_base_22rocsparse_matrix_type_20rocsparse_fill_mode_23rocsparse_storage_mode_P22rocsparse_data_status_.has_recursion, 0
	.set _ZN9rocsparseL23check_matrix_csr_deviceILj256ELj16EfllEEvT3_S1_T2_PKT1_PKS2_PKS1_S9_21rocsparse_index_base_22rocsparse_matrix_type_20rocsparse_fill_mode_23rocsparse_storage_mode_P22rocsparse_data_status_.has_indirect_call, 0
	.section	.AMDGPU.csdata,"",@progbits
; Kernel info:
; codeLenInByte = 924
; TotalNumSgprs: 50
; NumVgprs: 25
; ScratchSize: 0
; MemoryBound: 0
; FloatMode: 240
; IeeeMode: 1
; LDSByteSize: 0 bytes/workgroup (compile time only)
; SGPRBlocks: 6
; VGPRBlocks: 6
; NumSGPRsForWavesPerEU: 50
; NumVGPRsForWavesPerEU: 25
; Occupancy: 9
; WaveLimiterHint : 0
; COMPUTE_PGM_RSRC2:SCRATCH_EN: 0
; COMPUTE_PGM_RSRC2:USER_SGPR: 6
; COMPUTE_PGM_RSRC2:TRAP_HANDLER: 0
; COMPUTE_PGM_RSRC2:TGID_X_EN: 1
; COMPUTE_PGM_RSRC2:TGID_Y_EN: 0
; COMPUTE_PGM_RSRC2:TGID_Z_EN: 0
; COMPUTE_PGM_RSRC2:TIDIG_COMP_CNT: 0
	.section	.text._ZN9rocsparseL23check_matrix_csr_deviceILj256ELj32EfllEEvT3_S1_T2_PKT1_PKS2_PKS1_S9_21rocsparse_index_base_22rocsparse_matrix_type_20rocsparse_fill_mode_23rocsparse_storage_mode_P22rocsparse_data_status_,"axG",@progbits,_ZN9rocsparseL23check_matrix_csr_deviceILj256ELj32EfllEEvT3_S1_T2_PKT1_PKS2_PKS1_S9_21rocsparse_index_base_22rocsparse_matrix_type_20rocsparse_fill_mode_23rocsparse_storage_mode_P22rocsparse_data_status_,comdat
	.globl	_ZN9rocsparseL23check_matrix_csr_deviceILj256ELj32EfllEEvT3_S1_T2_PKT1_PKS2_PKS1_S9_21rocsparse_index_base_22rocsparse_matrix_type_20rocsparse_fill_mode_23rocsparse_storage_mode_P22rocsparse_data_status_ ; -- Begin function _ZN9rocsparseL23check_matrix_csr_deviceILj256ELj32EfllEEvT3_S1_T2_PKT1_PKS2_PKS1_S9_21rocsparse_index_base_22rocsparse_matrix_type_20rocsparse_fill_mode_23rocsparse_storage_mode_P22rocsparse_data_status_
	.p2align	8
	.type	_ZN9rocsparseL23check_matrix_csr_deviceILj256ELj32EfllEEvT3_S1_T2_PKT1_PKS2_PKS1_S9_21rocsparse_index_base_22rocsparse_matrix_type_20rocsparse_fill_mode_23rocsparse_storage_mode_P22rocsparse_data_status_,@function
_ZN9rocsparseL23check_matrix_csr_deviceILj256ELj32EfllEEvT3_S1_T2_PKT1_PKS2_PKS1_S9_21rocsparse_index_base_22rocsparse_matrix_type_20rocsparse_fill_mode_23rocsparse_storage_mode_P22rocsparse_data_status_: ; @_ZN9rocsparseL23check_matrix_csr_deviceILj256ELj32EfllEEvT3_S1_T2_PKT1_PKS2_PKS1_S9_21rocsparse_index_base_22rocsparse_matrix_type_20rocsparse_fill_mode_23rocsparse_storage_mode_P22rocsparse_data_status_
; %bb.0:
	s_load_dwordx4 s[16:19], s[4:5], 0x0
	v_lshl_or_b32 v1, s6, 8, v0
	v_lshrrev_b32_e32 v1, 5, v1
	v_mov_b32_e32 v2, 0
	s_waitcnt lgkmcnt(0)
	v_cmp_gt_i64_e32 vcc, s[16:17], v[1:2]
	s_and_saveexec_b64 s[0:1], vcc
	s_cbranch_execz .LBB65_31
; %bb.1:
	s_load_dwordx2 s[0:1], s[4:5], 0x20
	v_lshlrev_b32_e32 v3, 3, v1
	v_mov_b32_e32 v19, 3
	s_mov_b64 s[10:11], -1
	s_mov_b64 s[8:9], 0
	s_waitcnt lgkmcnt(0)
	global_load_dwordx4 v[7:10], v3, s[0:1]
	s_load_dwordx2 s[0:1], s[0:1], 0x0
	s_waitcnt lgkmcnt(0)
	v_mov_b32_e32 v6, s1
	s_waitcnt vmcnt(0)
	v_subrev_co_u32_e32 v3, vcc, s0, v7
	v_subb_co_u32_e32 v4, vcc, v8, v6, vcc
	v_subrev_co_u32_e32 v5, vcc, s0, v9
	v_subb_co_u32_e32 v6, vcc, v10, v6, vcc
	v_cmp_gt_i64_e64 s[0:1], 0, v[5:6]
	v_cmp_lt_i64_e64 s[2:3], v[9:10], v[7:8]
	v_cmp_lt_i64_e32 vcc, -1, v[3:4]
	s_or_b64 s[0:1], s[0:1], s[2:3]
	s_xor_b64 s[0:1], s[0:1], -1
	s_and_b64 s[0:1], vcc, s[0:1]
	s_and_saveexec_b64 s[6:7], s[0:1]
	s_cbranch_execz .LBB65_29
; %bb.2:
	v_and_b32_e32 v0, 31, v0
	v_add_co_u32_e32 v7, vcc, v3, v0
	v_addc_co_u32_e32 v8, vcc, 0, v4, vcc
	v_cmp_lt_u64_e32 vcc, v[7:8], v[5:6]
	v_mov_b32_e32 v19, 3
	s_and_saveexec_b64 s[16:17], vcc
	s_cbranch_execz .LBB65_28
; %bb.3:
	s_load_dwordx8 s[8:15], s[4:5], 0x28
	s_load_dwordx2 s[0:1], s[4:5], 0x18
	v_lshlrev_b64 v[13:14], 3, v[7:8]
	v_lshlrev_b64 v[11:12], 2, v[7:8]
                                        ; implicit-def: $sgpr24_sgpr25
                                        ; implicit-def: $sgpr26_sgpr27
	s_waitcnt lgkmcnt(0)
	v_mov_b32_e32 v0, s11
	v_add_co_u32_e32 v9, vcc, s10, v13
	v_addc_co_u32_e32 v0, vcc, v0, v14, vcc
	v_add_co_u32_e32 v9, vcc, -8, v9
	v_addc_co_u32_e32 v10, vcc, -1, v0, vcc
	s_cmp_lg_u32 s13, 0
	v_mov_b32_e32 v0, s1
	v_add_co_u32_e32 v11, vcc, s0, v11
	s_cselect_b64 s[20:21], -1, 0
	s_cmp_lg_u32 s14, 0
	v_addc_co_u32_e32 v12, vcc, v0, v12, vcc
	s_cselect_b64 s[22:23], -1, 0
	s_cmp_lg_u32 s15, 0
	v_mov_b32_e32 v0, s9
	v_add_co_u32_e32 v13, vcc, s8, v13
	s_cselect_b64 s[14:15], -1, 0
	v_addc_co_u32_e32 v14, vcc, v0, v14, vcc
	s_mov_b64 s[8:9], 0
	s_mov_b32 s13, 0x7f800000
                                        ; implicit-def: $sgpr10_sgpr11
	s_branch .LBB65_10
.LBB65_4:                               ;   in Loop: Header=BB65_10 Depth=1
	s_or_b64 exec, exec, s[0:1]
	s_orn2_b64 s[42:43], s[2:3], exec
	s_orn2_b64 s[0:1], s[38:39], exec
.LBB65_5:                               ;   in Loop: Header=BB65_10 Depth=1
	s_or_b64 exec, exec, s[40:41]
	s_orn2_b64 s[2:3], s[42:43], exec
	s_orn2_b64 s[0:1], s[0:1], exec
.LBB65_6:                               ;   in Loop: Header=BB65_10 Depth=1
	s_or_b64 exec, exec, s[36:37]
	s_orn2_b64 s[2:3], s[2:3], exec
	s_orn2_b64 s[0:1], s[0:1], exec
.LBB65_7:                               ;   in Loop: Header=BB65_10 Depth=1
	s_or_b64 exec, exec, s[34:35]
	s_orn2_b64 s[2:3], s[2:3], exec
	s_orn2_b64 s[0:1], s[0:1], exec
.LBB65_8:                               ;   in Loop: Header=BB65_10 Depth=1
	s_or_b64 exec, exec, s[30:31]
	s_andn2_b64 s[26:27], s[26:27], exec
	s_and_b64 s[2:3], s[2:3], exec
	s_or_b64 s[26:27], s[26:27], s[2:3]
	s_andn2_b64 s[2:3], s[24:25], exec
	s_and_b64 s[0:1], s[0:1], exec
	s_or_b64 s[24:25], s[2:3], s[0:1]
.LBB65_9:                               ;   in Loop: Header=BB65_10 Depth=1
	s_or_b64 exec, exec, s[28:29]
	s_and_b64 s[0:1], exec, s[24:25]
	s_or_b64 s[8:9], s[0:1], s[8:9]
	s_andn2_b64 s[0:1], s[10:11], exec
	s_and_b64 s[2:3], s[26:27], exec
	s_or_b64 s[10:11], s[0:1], s[2:3]
	s_andn2_b64 exec, exec, s[8:9]
	s_cbranch_execz .LBB65_27
.LBB65_10:                              ; =>This Inner Loop Header: Depth=1
	global_load_dwordx2 v[15:16], v[13:14], off
	v_mov_b32_e32 v19, 4
	s_or_b64 s[26:27], s[26:27], exec
	s_or_b64 s[24:25], s[24:25], exec
	s_waitcnt vmcnt(0)
	v_subrev_co_u32_e32 v17, vcc, s12, v15
	v_subbrev_co_u32_e32 v18, vcc, 0, v16, vcc
	v_cmp_lt_i64_e32 vcc, -1, v[17:18]
	v_cmp_gt_i64_e64 s[0:1], s[18:19], v[17:18]
	s_and_b64 s[0:1], vcc, s[0:1]
	s_and_saveexec_b64 s[28:29], s[0:1]
	s_cbranch_execz .LBB65_9
; %bb.11:                               ;   in Loop: Header=BB65_10 Depth=1
	v_cmp_le_i64_e64 s[38:39], v[7:8], v[3:4]
	v_cmp_gt_i64_e32 vcc, v[7:8], v[3:4]
	v_mov_b32_e32 v19, 4
	s_mov_b64 s[34:35], s[38:39]
	s_and_saveexec_b64 s[30:31], vcc
	s_cbranch_execz .LBB65_13
; %bb.12:                               ;   in Loop: Header=BB65_10 Depth=1
	global_load_dwordx4 v[19:22], v[9:10], off
	s_waitcnt vmcnt(0)
	v_subrev_co_u32_e32 v23, vcc, s12, v19
	v_subbrev_co_u32_e32 v24, vcc, 0, v20, vcc
	v_cmp_lt_i64_e64 s[0:1], -1, v[23:24]
	v_cmp_gt_i64_e64 s[2:3], s[18:19], v[23:24]
	v_cmp_ne_u64_e32 vcc, v[21:22], v[19:20]
	s_and_b64 s[0:1], s[0:1], s[2:3]
	s_xor_b64 s[0:1], s[0:1], -1
	s_or_b64 s[0:1], vcc, s[0:1]
	s_andn2_b64 s[2:3], s[38:39], exec
	s_and_b64 s[0:1], s[0:1], exec
	v_mov_b32_e32 v19, 5
	s_or_b64 s[34:35], s[2:3], s[0:1]
.LBB65_13:                              ;   in Loop: Header=BB65_10 Depth=1
	s_or_b64 exec, exec, s[30:31]
	s_mov_b64 s[0:1], -1
	s_mov_b64 s[2:3], -1
	s_and_saveexec_b64 s[30:31], s[34:35]
	s_cbranch_execz .LBB65_8
; %bb.14:                               ;   in Loop: Header=BB65_10 Depth=1
	global_load_dword v0, v[11:12], off
	v_mov_b32_e32 v19, 1
	s_waitcnt vmcnt(0)
	v_cmp_neq_f32_e32 vcc, s13, v0
	s_and_saveexec_b64 s[34:35], vcc
	s_cbranch_execz .LBB65_7
; %bb.15:                               ;   in Loop: Header=BB65_10 Depth=1
	v_cmp_o_f32_e32 vcc, v0, v0
	v_mov_b32_e32 v19, 2
	s_and_saveexec_b64 s[36:37], vcc
	s_cbranch_execz .LBB65_6
; %bb.16:                               ;   in Loop: Header=BB65_10 Depth=1
	s_and_b64 vcc, exec, s[20:21]
	s_cbranch_vccz .LBB65_19
; %bb.17:                               ;   in Loop: Header=BB65_10 Depth=1
	s_and_b64 vcc, exec, s[22:23]
	s_cbranch_vccz .LBB65_20
; %bb.18:                               ;   in Loop: Header=BB65_10 Depth=1
	v_cmp_ge_i64_e32 vcc, v[17:18], v[1:2]
	s_mov_b32 s33, 7
	s_and_b64 s[2:3], vcc, exec
	s_cbranch_execz .LBB65_21
	s_branch .LBB65_22
.LBB65_19:                              ;   in Loop: Header=BB65_10 Depth=1
	s_mov_b32 s33, 2
	s_branch .LBB65_22
.LBB65_20:                              ;   in Loop: Header=BB65_10 Depth=1
	s_mov_b64 s[2:3], 0
	s_mov_b32 s33, 2
.LBB65_21:                              ;   in Loop: Header=BB65_10 Depth=1
	v_cmp_le_i64_e32 vcc, v[17:18], v[1:2]
	s_andn2_b64 s[2:3], s[2:3], exec
	s_and_b64 s[40:41], vcc, exec
	s_mov_b32 s33, 7
	s_or_b64 s[2:3], s[2:3], s[40:41]
.LBB65_22:                              ;   in Loop: Header=BB65_10 Depth=1
	v_mov_b32_e32 v19, s33
	s_mov_b64 s[42:43], -1
	s_and_saveexec_b64 s[40:41], s[2:3]
	s_cbranch_execz .LBB65_5
; %bb.23:                               ;   in Loop: Header=BB65_10 Depth=1
	s_nor_b64 s[0:1], s[14:15], s[38:39]
	s_mov_b64 s[38:39], -1
	v_mov_b32_e32 v19, s33
	s_mov_b64 s[44:45], -1
	s_and_saveexec_b64 s[42:43], s[0:1]
	s_cbranch_execz .LBB65_25
; %bb.24:                               ;   in Loop: Header=BB65_10 Depth=1
	global_load_dwordx2 v[17:18], v[13:14], off offset:-8
	s_waitcnt vmcnt(0)
	v_subrev_co_u32_e32 v19, vcc, s12, v17
	v_subbrev_co_u32_e32 v20, vcc, 0, v18, vcc
	v_cmp_lt_i64_e32 vcc, -1, v[19:20]
	v_cmp_gt_i64_e64 s[0:1], s[18:19], v[19:20]
	v_cmp_gt_i64_e64 s[2:3], v[15:16], v[17:18]
	s_and_b64 s[0:1], vcc, s[0:1]
	s_xor_b64 s[0:1], s[0:1], -1
	s_or_b64 s[0:1], s[2:3], s[0:1]
	v_mov_b32_e32 v19, 6
	s_orn2_b64 s[44:45], s[0:1], exec
.LBB65_25:                              ;   in Loop: Header=BB65_10 Depth=1
	s_or_b64 exec, exec, s[42:43]
	s_mov_b64 s[2:3], -1
	s_and_saveexec_b64 s[0:1], s[44:45]
	s_cbranch_execz .LBB65_4
; %bb.26:                               ;   in Loop: Header=BB65_10 Depth=1
	v_add_co_u32_e32 v7, vcc, 32, v7
	v_addc_co_u32_e32 v8, vcc, 0, v8, vcc
	v_add_co_u32_e32 v9, vcc, 0x100, v9
	v_addc_co_u32_e32 v10, vcc, 0, v10, vcc
	;; [unrolled: 2-line block ×4, first 2 shown]
	v_cmp_ge_i64_e32 vcc, v[7:8], v[5:6]
	s_xor_b64 s[2:3], exec, -1
	s_orn2_b64 s[38:39], vcc, exec
	s_branch .LBB65_4
.LBB65_27:
	s_or_b64 exec, exec, s[8:9]
	s_and_b64 s[8:9], s[10:11], exec
.LBB65_28:
	s_or_b64 exec, exec, s[16:17]
	s_orn2_b64 s[10:11], s[8:9], exec
.LBB65_29:
	s_or_b64 exec, exec, s[6:7]
	s_and_b64 exec, exec, s[10:11]
	s_cbranch_execz .LBB65_31
; %bb.30:
	s_load_dwordx2 s[0:1], s[4:5], 0x48
	v_mov_b32_e32 v0, 0
	s_waitcnt lgkmcnt(0)
	global_store_dword v0, v19, s[0:1]
.LBB65_31:
	s_endpgm
	.section	.rodata,"a",@progbits
	.p2align	6, 0x0
	.amdhsa_kernel _ZN9rocsparseL23check_matrix_csr_deviceILj256ELj32EfllEEvT3_S1_T2_PKT1_PKS2_PKS1_S9_21rocsparse_index_base_22rocsparse_matrix_type_20rocsparse_fill_mode_23rocsparse_storage_mode_P22rocsparse_data_status_
		.amdhsa_group_segment_fixed_size 0
		.amdhsa_private_segment_fixed_size 0
		.amdhsa_kernarg_size 80
		.amdhsa_user_sgpr_count 6
		.amdhsa_user_sgpr_private_segment_buffer 1
		.amdhsa_user_sgpr_dispatch_ptr 0
		.amdhsa_user_sgpr_queue_ptr 0
		.amdhsa_user_sgpr_kernarg_segment_ptr 1
		.amdhsa_user_sgpr_dispatch_id 0
		.amdhsa_user_sgpr_flat_scratch_init 0
		.amdhsa_user_sgpr_private_segment_size 0
		.amdhsa_uses_dynamic_stack 0
		.amdhsa_system_sgpr_private_segment_wavefront_offset 0
		.amdhsa_system_sgpr_workgroup_id_x 1
		.amdhsa_system_sgpr_workgroup_id_y 0
		.amdhsa_system_sgpr_workgroup_id_z 0
		.amdhsa_system_sgpr_workgroup_info 0
		.amdhsa_system_vgpr_workitem_id 0
		.amdhsa_next_free_vgpr 25
		.amdhsa_next_free_sgpr 46
		.amdhsa_reserve_vcc 1
		.amdhsa_reserve_flat_scratch 0
		.amdhsa_float_round_mode_32 0
		.amdhsa_float_round_mode_16_64 0
		.amdhsa_float_denorm_mode_32 3
		.amdhsa_float_denorm_mode_16_64 3
		.amdhsa_dx10_clamp 1
		.amdhsa_ieee_mode 1
		.amdhsa_fp16_overflow 0
		.amdhsa_exception_fp_ieee_invalid_op 0
		.amdhsa_exception_fp_denorm_src 0
		.amdhsa_exception_fp_ieee_div_zero 0
		.amdhsa_exception_fp_ieee_overflow 0
		.amdhsa_exception_fp_ieee_underflow 0
		.amdhsa_exception_fp_ieee_inexact 0
		.amdhsa_exception_int_div_zero 0
	.end_amdhsa_kernel
	.section	.text._ZN9rocsparseL23check_matrix_csr_deviceILj256ELj32EfllEEvT3_S1_T2_PKT1_PKS2_PKS1_S9_21rocsparse_index_base_22rocsparse_matrix_type_20rocsparse_fill_mode_23rocsparse_storage_mode_P22rocsparse_data_status_,"axG",@progbits,_ZN9rocsparseL23check_matrix_csr_deviceILj256ELj32EfllEEvT3_S1_T2_PKT1_PKS2_PKS1_S9_21rocsparse_index_base_22rocsparse_matrix_type_20rocsparse_fill_mode_23rocsparse_storage_mode_P22rocsparse_data_status_,comdat
.Lfunc_end65:
	.size	_ZN9rocsparseL23check_matrix_csr_deviceILj256ELj32EfllEEvT3_S1_T2_PKT1_PKS2_PKS1_S9_21rocsparse_index_base_22rocsparse_matrix_type_20rocsparse_fill_mode_23rocsparse_storage_mode_P22rocsparse_data_status_, .Lfunc_end65-_ZN9rocsparseL23check_matrix_csr_deviceILj256ELj32EfllEEvT3_S1_T2_PKT1_PKS2_PKS1_S9_21rocsparse_index_base_22rocsparse_matrix_type_20rocsparse_fill_mode_23rocsparse_storage_mode_P22rocsparse_data_status_
                                        ; -- End function
	.set _ZN9rocsparseL23check_matrix_csr_deviceILj256ELj32EfllEEvT3_S1_T2_PKT1_PKS2_PKS1_S9_21rocsparse_index_base_22rocsparse_matrix_type_20rocsparse_fill_mode_23rocsparse_storage_mode_P22rocsparse_data_status_.num_vgpr, 25
	.set _ZN9rocsparseL23check_matrix_csr_deviceILj256ELj32EfllEEvT3_S1_T2_PKT1_PKS2_PKS1_S9_21rocsparse_index_base_22rocsparse_matrix_type_20rocsparse_fill_mode_23rocsparse_storage_mode_P22rocsparse_data_status_.num_agpr, 0
	.set _ZN9rocsparseL23check_matrix_csr_deviceILj256ELj32EfllEEvT3_S1_T2_PKT1_PKS2_PKS1_S9_21rocsparse_index_base_22rocsparse_matrix_type_20rocsparse_fill_mode_23rocsparse_storage_mode_P22rocsparse_data_status_.numbered_sgpr, 46
	.set _ZN9rocsparseL23check_matrix_csr_deviceILj256ELj32EfllEEvT3_S1_T2_PKT1_PKS2_PKS1_S9_21rocsparse_index_base_22rocsparse_matrix_type_20rocsparse_fill_mode_23rocsparse_storage_mode_P22rocsparse_data_status_.num_named_barrier, 0
	.set _ZN9rocsparseL23check_matrix_csr_deviceILj256ELj32EfllEEvT3_S1_T2_PKT1_PKS2_PKS1_S9_21rocsparse_index_base_22rocsparse_matrix_type_20rocsparse_fill_mode_23rocsparse_storage_mode_P22rocsparse_data_status_.private_seg_size, 0
	.set _ZN9rocsparseL23check_matrix_csr_deviceILj256ELj32EfllEEvT3_S1_T2_PKT1_PKS2_PKS1_S9_21rocsparse_index_base_22rocsparse_matrix_type_20rocsparse_fill_mode_23rocsparse_storage_mode_P22rocsparse_data_status_.uses_vcc, 1
	.set _ZN9rocsparseL23check_matrix_csr_deviceILj256ELj32EfllEEvT3_S1_T2_PKT1_PKS2_PKS1_S9_21rocsparse_index_base_22rocsparse_matrix_type_20rocsparse_fill_mode_23rocsparse_storage_mode_P22rocsparse_data_status_.uses_flat_scratch, 0
	.set _ZN9rocsparseL23check_matrix_csr_deviceILj256ELj32EfllEEvT3_S1_T2_PKT1_PKS2_PKS1_S9_21rocsparse_index_base_22rocsparse_matrix_type_20rocsparse_fill_mode_23rocsparse_storage_mode_P22rocsparse_data_status_.has_dyn_sized_stack, 0
	.set _ZN9rocsparseL23check_matrix_csr_deviceILj256ELj32EfllEEvT3_S1_T2_PKT1_PKS2_PKS1_S9_21rocsparse_index_base_22rocsparse_matrix_type_20rocsparse_fill_mode_23rocsparse_storage_mode_P22rocsparse_data_status_.has_recursion, 0
	.set _ZN9rocsparseL23check_matrix_csr_deviceILj256ELj32EfllEEvT3_S1_T2_PKT1_PKS2_PKS1_S9_21rocsparse_index_base_22rocsparse_matrix_type_20rocsparse_fill_mode_23rocsparse_storage_mode_P22rocsparse_data_status_.has_indirect_call, 0
	.section	.AMDGPU.csdata,"",@progbits
; Kernel info:
; codeLenInByte = 928
; TotalNumSgprs: 50
; NumVgprs: 25
; ScratchSize: 0
; MemoryBound: 0
; FloatMode: 240
; IeeeMode: 1
; LDSByteSize: 0 bytes/workgroup (compile time only)
; SGPRBlocks: 6
; VGPRBlocks: 6
; NumSGPRsForWavesPerEU: 50
; NumVGPRsForWavesPerEU: 25
; Occupancy: 9
; WaveLimiterHint : 0
; COMPUTE_PGM_RSRC2:SCRATCH_EN: 0
; COMPUTE_PGM_RSRC2:USER_SGPR: 6
; COMPUTE_PGM_RSRC2:TRAP_HANDLER: 0
; COMPUTE_PGM_RSRC2:TGID_X_EN: 1
; COMPUTE_PGM_RSRC2:TGID_Y_EN: 0
; COMPUTE_PGM_RSRC2:TGID_Z_EN: 0
; COMPUTE_PGM_RSRC2:TIDIG_COMP_CNT: 0
	.section	.text._ZN9rocsparseL23check_matrix_csr_deviceILj256ELj64EfllEEvT3_S1_T2_PKT1_PKS2_PKS1_S9_21rocsparse_index_base_22rocsparse_matrix_type_20rocsparse_fill_mode_23rocsparse_storage_mode_P22rocsparse_data_status_,"axG",@progbits,_ZN9rocsparseL23check_matrix_csr_deviceILj256ELj64EfllEEvT3_S1_T2_PKT1_PKS2_PKS1_S9_21rocsparse_index_base_22rocsparse_matrix_type_20rocsparse_fill_mode_23rocsparse_storage_mode_P22rocsparse_data_status_,comdat
	.globl	_ZN9rocsparseL23check_matrix_csr_deviceILj256ELj64EfllEEvT3_S1_T2_PKT1_PKS2_PKS1_S9_21rocsparse_index_base_22rocsparse_matrix_type_20rocsparse_fill_mode_23rocsparse_storage_mode_P22rocsparse_data_status_ ; -- Begin function _ZN9rocsparseL23check_matrix_csr_deviceILj256ELj64EfllEEvT3_S1_T2_PKT1_PKS2_PKS1_S9_21rocsparse_index_base_22rocsparse_matrix_type_20rocsparse_fill_mode_23rocsparse_storage_mode_P22rocsparse_data_status_
	.p2align	8
	.type	_ZN9rocsparseL23check_matrix_csr_deviceILj256ELj64EfllEEvT3_S1_T2_PKT1_PKS2_PKS1_S9_21rocsparse_index_base_22rocsparse_matrix_type_20rocsparse_fill_mode_23rocsparse_storage_mode_P22rocsparse_data_status_,@function
_ZN9rocsparseL23check_matrix_csr_deviceILj256ELj64EfllEEvT3_S1_T2_PKT1_PKS2_PKS1_S9_21rocsparse_index_base_22rocsparse_matrix_type_20rocsparse_fill_mode_23rocsparse_storage_mode_P22rocsparse_data_status_: ; @_ZN9rocsparseL23check_matrix_csr_deviceILj256ELj64EfllEEvT3_S1_T2_PKT1_PKS2_PKS1_S9_21rocsparse_index_base_22rocsparse_matrix_type_20rocsparse_fill_mode_23rocsparse_storage_mode_P22rocsparse_data_status_
; %bb.0:
	s_load_dwordx4 s[16:19], s[4:5], 0x0
	v_lshl_or_b32 v1, s6, 8, v0
	v_lshrrev_b32_e32 v1, 6, v1
	v_mov_b32_e32 v2, 0
	s_waitcnt lgkmcnt(0)
	v_cmp_gt_i64_e32 vcc, s[16:17], v[1:2]
	s_and_saveexec_b64 s[0:1], vcc
	s_cbranch_execz .LBB66_31
; %bb.1:
	s_load_dwordx2 s[0:1], s[4:5], 0x20
	v_lshlrev_b32_e32 v3, 3, v1
	v_mov_b32_e32 v19, 3
	s_mov_b64 s[10:11], -1
	s_mov_b64 s[8:9], 0
	s_waitcnt lgkmcnt(0)
	global_load_dwordx4 v[7:10], v3, s[0:1]
	s_load_dwordx2 s[0:1], s[0:1], 0x0
	s_waitcnt lgkmcnt(0)
	v_mov_b32_e32 v6, s1
	s_waitcnt vmcnt(0)
	v_subrev_co_u32_e32 v3, vcc, s0, v7
	v_subb_co_u32_e32 v4, vcc, v8, v6, vcc
	v_subrev_co_u32_e32 v5, vcc, s0, v9
	v_subb_co_u32_e32 v6, vcc, v10, v6, vcc
	v_cmp_gt_i64_e64 s[0:1], 0, v[5:6]
	v_cmp_lt_i64_e64 s[2:3], v[9:10], v[7:8]
	v_cmp_lt_i64_e32 vcc, -1, v[3:4]
	s_or_b64 s[0:1], s[0:1], s[2:3]
	s_xor_b64 s[0:1], s[0:1], -1
	s_and_b64 s[0:1], vcc, s[0:1]
	s_and_saveexec_b64 s[6:7], s[0:1]
	s_cbranch_execz .LBB66_29
; %bb.2:
	v_and_b32_e32 v0, 63, v0
	v_add_co_u32_e32 v7, vcc, v3, v0
	v_addc_co_u32_e32 v8, vcc, 0, v4, vcc
	v_cmp_lt_u64_e32 vcc, v[7:8], v[5:6]
	v_mov_b32_e32 v19, 3
	s_and_saveexec_b64 s[16:17], vcc
	s_cbranch_execz .LBB66_28
; %bb.3:
	s_load_dwordx8 s[8:15], s[4:5], 0x28
	s_load_dwordx2 s[0:1], s[4:5], 0x18
	v_lshlrev_b64 v[13:14], 3, v[7:8]
	v_lshlrev_b64 v[11:12], 2, v[7:8]
                                        ; implicit-def: $sgpr24_sgpr25
                                        ; implicit-def: $sgpr26_sgpr27
	s_waitcnt lgkmcnt(0)
	v_mov_b32_e32 v0, s11
	v_add_co_u32_e32 v9, vcc, s10, v13
	v_addc_co_u32_e32 v0, vcc, v0, v14, vcc
	v_add_co_u32_e32 v9, vcc, -8, v9
	v_addc_co_u32_e32 v10, vcc, -1, v0, vcc
	s_cmp_lg_u32 s13, 0
	v_mov_b32_e32 v0, s1
	v_add_co_u32_e32 v11, vcc, s0, v11
	s_cselect_b64 s[20:21], -1, 0
	s_cmp_lg_u32 s14, 0
	v_addc_co_u32_e32 v12, vcc, v0, v12, vcc
	s_cselect_b64 s[22:23], -1, 0
	s_cmp_lg_u32 s15, 0
	v_mov_b32_e32 v0, s9
	v_add_co_u32_e32 v13, vcc, s8, v13
	s_cselect_b64 s[14:15], -1, 0
	v_addc_co_u32_e32 v14, vcc, v0, v14, vcc
	s_mov_b64 s[8:9], 0
	s_mov_b32 s13, 0x7f800000
                                        ; implicit-def: $sgpr10_sgpr11
	s_branch .LBB66_10
.LBB66_4:                               ;   in Loop: Header=BB66_10 Depth=1
	s_or_b64 exec, exec, s[0:1]
	s_orn2_b64 s[42:43], s[2:3], exec
	s_orn2_b64 s[0:1], s[38:39], exec
.LBB66_5:                               ;   in Loop: Header=BB66_10 Depth=1
	s_or_b64 exec, exec, s[40:41]
	s_orn2_b64 s[2:3], s[42:43], exec
	s_orn2_b64 s[0:1], s[0:1], exec
.LBB66_6:                               ;   in Loop: Header=BB66_10 Depth=1
	s_or_b64 exec, exec, s[36:37]
	s_orn2_b64 s[2:3], s[2:3], exec
	s_orn2_b64 s[0:1], s[0:1], exec
.LBB66_7:                               ;   in Loop: Header=BB66_10 Depth=1
	s_or_b64 exec, exec, s[34:35]
	s_orn2_b64 s[2:3], s[2:3], exec
	s_orn2_b64 s[0:1], s[0:1], exec
.LBB66_8:                               ;   in Loop: Header=BB66_10 Depth=1
	s_or_b64 exec, exec, s[30:31]
	s_andn2_b64 s[26:27], s[26:27], exec
	s_and_b64 s[2:3], s[2:3], exec
	s_or_b64 s[26:27], s[26:27], s[2:3]
	s_andn2_b64 s[2:3], s[24:25], exec
	s_and_b64 s[0:1], s[0:1], exec
	s_or_b64 s[24:25], s[2:3], s[0:1]
.LBB66_9:                               ;   in Loop: Header=BB66_10 Depth=1
	s_or_b64 exec, exec, s[28:29]
	s_and_b64 s[0:1], exec, s[24:25]
	s_or_b64 s[8:9], s[0:1], s[8:9]
	s_andn2_b64 s[0:1], s[10:11], exec
	s_and_b64 s[2:3], s[26:27], exec
	s_or_b64 s[10:11], s[0:1], s[2:3]
	s_andn2_b64 exec, exec, s[8:9]
	s_cbranch_execz .LBB66_27
.LBB66_10:                              ; =>This Inner Loop Header: Depth=1
	global_load_dwordx2 v[15:16], v[13:14], off
	v_mov_b32_e32 v19, 4
	s_or_b64 s[26:27], s[26:27], exec
	s_or_b64 s[24:25], s[24:25], exec
	s_waitcnt vmcnt(0)
	v_subrev_co_u32_e32 v17, vcc, s12, v15
	v_subbrev_co_u32_e32 v18, vcc, 0, v16, vcc
	v_cmp_lt_i64_e32 vcc, -1, v[17:18]
	v_cmp_gt_i64_e64 s[0:1], s[18:19], v[17:18]
	s_and_b64 s[0:1], vcc, s[0:1]
	s_and_saveexec_b64 s[28:29], s[0:1]
	s_cbranch_execz .LBB66_9
; %bb.11:                               ;   in Loop: Header=BB66_10 Depth=1
	v_cmp_le_i64_e64 s[38:39], v[7:8], v[3:4]
	v_cmp_gt_i64_e32 vcc, v[7:8], v[3:4]
	v_mov_b32_e32 v19, 4
	s_mov_b64 s[34:35], s[38:39]
	s_and_saveexec_b64 s[30:31], vcc
	s_cbranch_execz .LBB66_13
; %bb.12:                               ;   in Loop: Header=BB66_10 Depth=1
	global_load_dwordx4 v[19:22], v[9:10], off
	s_waitcnt vmcnt(0)
	v_subrev_co_u32_e32 v23, vcc, s12, v19
	v_subbrev_co_u32_e32 v24, vcc, 0, v20, vcc
	v_cmp_lt_i64_e64 s[0:1], -1, v[23:24]
	v_cmp_gt_i64_e64 s[2:3], s[18:19], v[23:24]
	v_cmp_ne_u64_e32 vcc, v[21:22], v[19:20]
	s_and_b64 s[0:1], s[0:1], s[2:3]
	s_xor_b64 s[0:1], s[0:1], -1
	s_or_b64 s[0:1], vcc, s[0:1]
	s_andn2_b64 s[2:3], s[38:39], exec
	s_and_b64 s[0:1], s[0:1], exec
	v_mov_b32_e32 v19, 5
	s_or_b64 s[34:35], s[2:3], s[0:1]
.LBB66_13:                              ;   in Loop: Header=BB66_10 Depth=1
	s_or_b64 exec, exec, s[30:31]
	s_mov_b64 s[0:1], -1
	s_mov_b64 s[2:3], -1
	s_and_saveexec_b64 s[30:31], s[34:35]
	s_cbranch_execz .LBB66_8
; %bb.14:                               ;   in Loop: Header=BB66_10 Depth=1
	global_load_dword v0, v[11:12], off
	v_mov_b32_e32 v19, 1
	s_waitcnt vmcnt(0)
	v_cmp_neq_f32_e32 vcc, s13, v0
	s_and_saveexec_b64 s[34:35], vcc
	s_cbranch_execz .LBB66_7
; %bb.15:                               ;   in Loop: Header=BB66_10 Depth=1
	v_cmp_o_f32_e32 vcc, v0, v0
	v_mov_b32_e32 v19, 2
	s_and_saveexec_b64 s[36:37], vcc
	s_cbranch_execz .LBB66_6
; %bb.16:                               ;   in Loop: Header=BB66_10 Depth=1
	s_and_b64 vcc, exec, s[20:21]
	s_cbranch_vccz .LBB66_19
; %bb.17:                               ;   in Loop: Header=BB66_10 Depth=1
	s_and_b64 vcc, exec, s[22:23]
	s_cbranch_vccz .LBB66_20
; %bb.18:                               ;   in Loop: Header=BB66_10 Depth=1
	v_cmp_ge_i64_e32 vcc, v[17:18], v[1:2]
	s_mov_b32 s33, 7
	s_and_b64 s[2:3], vcc, exec
	s_cbranch_execz .LBB66_21
	s_branch .LBB66_22
.LBB66_19:                              ;   in Loop: Header=BB66_10 Depth=1
	s_mov_b32 s33, 2
	s_branch .LBB66_22
.LBB66_20:                              ;   in Loop: Header=BB66_10 Depth=1
	s_mov_b64 s[2:3], 0
	s_mov_b32 s33, 2
.LBB66_21:                              ;   in Loop: Header=BB66_10 Depth=1
	v_cmp_le_i64_e32 vcc, v[17:18], v[1:2]
	s_andn2_b64 s[2:3], s[2:3], exec
	s_and_b64 s[40:41], vcc, exec
	s_mov_b32 s33, 7
	s_or_b64 s[2:3], s[2:3], s[40:41]
.LBB66_22:                              ;   in Loop: Header=BB66_10 Depth=1
	v_mov_b32_e32 v19, s33
	s_mov_b64 s[42:43], -1
	s_and_saveexec_b64 s[40:41], s[2:3]
	s_cbranch_execz .LBB66_5
; %bb.23:                               ;   in Loop: Header=BB66_10 Depth=1
	s_nor_b64 s[0:1], s[14:15], s[38:39]
	s_mov_b64 s[38:39], -1
	v_mov_b32_e32 v19, s33
	s_mov_b64 s[44:45], -1
	s_and_saveexec_b64 s[42:43], s[0:1]
	s_cbranch_execz .LBB66_25
; %bb.24:                               ;   in Loop: Header=BB66_10 Depth=1
	global_load_dwordx2 v[17:18], v[13:14], off offset:-8
	s_waitcnt vmcnt(0)
	v_subrev_co_u32_e32 v19, vcc, s12, v17
	v_subbrev_co_u32_e32 v20, vcc, 0, v18, vcc
	v_cmp_lt_i64_e32 vcc, -1, v[19:20]
	v_cmp_gt_i64_e64 s[0:1], s[18:19], v[19:20]
	v_cmp_gt_i64_e64 s[2:3], v[15:16], v[17:18]
	s_and_b64 s[0:1], vcc, s[0:1]
	s_xor_b64 s[0:1], s[0:1], -1
	s_or_b64 s[0:1], s[2:3], s[0:1]
	v_mov_b32_e32 v19, 6
	s_orn2_b64 s[44:45], s[0:1], exec
.LBB66_25:                              ;   in Loop: Header=BB66_10 Depth=1
	s_or_b64 exec, exec, s[42:43]
	s_mov_b64 s[2:3], -1
	s_and_saveexec_b64 s[0:1], s[44:45]
	s_cbranch_execz .LBB66_4
; %bb.26:                               ;   in Loop: Header=BB66_10 Depth=1
	v_add_co_u32_e32 v7, vcc, 64, v7
	v_addc_co_u32_e32 v8, vcc, 0, v8, vcc
	v_add_co_u32_e32 v9, vcc, 0x200, v9
	v_addc_co_u32_e32 v10, vcc, 0, v10, vcc
	;; [unrolled: 2-line block ×4, first 2 shown]
	v_cmp_ge_i64_e32 vcc, v[7:8], v[5:6]
	s_xor_b64 s[2:3], exec, -1
	s_orn2_b64 s[38:39], vcc, exec
	s_branch .LBB66_4
.LBB66_27:
	s_or_b64 exec, exec, s[8:9]
	s_and_b64 s[8:9], s[10:11], exec
.LBB66_28:
	s_or_b64 exec, exec, s[16:17]
	s_orn2_b64 s[10:11], s[8:9], exec
.LBB66_29:
	s_or_b64 exec, exec, s[6:7]
	s_and_b64 exec, exec, s[10:11]
	s_cbranch_execz .LBB66_31
; %bb.30:
	s_load_dwordx2 s[0:1], s[4:5], 0x48
	v_mov_b32_e32 v0, 0
	s_waitcnt lgkmcnt(0)
	global_store_dword v0, v19, s[0:1]
.LBB66_31:
	s_endpgm
	.section	.rodata,"a",@progbits
	.p2align	6, 0x0
	.amdhsa_kernel _ZN9rocsparseL23check_matrix_csr_deviceILj256ELj64EfllEEvT3_S1_T2_PKT1_PKS2_PKS1_S9_21rocsparse_index_base_22rocsparse_matrix_type_20rocsparse_fill_mode_23rocsparse_storage_mode_P22rocsparse_data_status_
		.amdhsa_group_segment_fixed_size 0
		.amdhsa_private_segment_fixed_size 0
		.amdhsa_kernarg_size 80
		.amdhsa_user_sgpr_count 6
		.amdhsa_user_sgpr_private_segment_buffer 1
		.amdhsa_user_sgpr_dispatch_ptr 0
		.amdhsa_user_sgpr_queue_ptr 0
		.amdhsa_user_sgpr_kernarg_segment_ptr 1
		.amdhsa_user_sgpr_dispatch_id 0
		.amdhsa_user_sgpr_flat_scratch_init 0
		.amdhsa_user_sgpr_private_segment_size 0
		.amdhsa_uses_dynamic_stack 0
		.amdhsa_system_sgpr_private_segment_wavefront_offset 0
		.amdhsa_system_sgpr_workgroup_id_x 1
		.amdhsa_system_sgpr_workgroup_id_y 0
		.amdhsa_system_sgpr_workgroup_id_z 0
		.amdhsa_system_sgpr_workgroup_info 0
		.amdhsa_system_vgpr_workitem_id 0
		.amdhsa_next_free_vgpr 25
		.amdhsa_next_free_sgpr 46
		.amdhsa_reserve_vcc 1
		.amdhsa_reserve_flat_scratch 0
		.amdhsa_float_round_mode_32 0
		.amdhsa_float_round_mode_16_64 0
		.amdhsa_float_denorm_mode_32 3
		.amdhsa_float_denorm_mode_16_64 3
		.amdhsa_dx10_clamp 1
		.amdhsa_ieee_mode 1
		.amdhsa_fp16_overflow 0
		.amdhsa_exception_fp_ieee_invalid_op 0
		.amdhsa_exception_fp_denorm_src 0
		.amdhsa_exception_fp_ieee_div_zero 0
		.amdhsa_exception_fp_ieee_overflow 0
		.amdhsa_exception_fp_ieee_underflow 0
		.amdhsa_exception_fp_ieee_inexact 0
		.amdhsa_exception_int_div_zero 0
	.end_amdhsa_kernel
	.section	.text._ZN9rocsparseL23check_matrix_csr_deviceILj256ELj64EfllEEvT3_S1_T2_PKT1_PKS2_PKS1_S9_21rocsparse_index_base_22rocsparse_matrix_type_20rocsparse_fill_mode_23rocsparse_storage_mode_P22rocsparse_data_status_,"axG",@progbits,_ZN9rocsparseL23check_matrix_csr_deviceILj256ELj64EfllEEvT3_S1_T2_PKT1_PKS2_PKS1_S9_21rocsparse_index_base_22rocsparse_matrix_type_20rocsparse_fill_mode_23rocsparse_storage_mode_P22rocsparse_data_status_,comdat
.Lfunc_end66:
	.size	_ZN9rocsparseL23check_matrix_csr_deviceILj256ELj64EfllEEvT3_S1_T2_PKT1_PKS2_PKS1_S9_21rocsparse_index_base_22rocsparse_matrix_type_20rocsparse_fill_mode_23rocsparse_storage_mode_P22rocsparse_data_status_, .Lfunc_end66-_ZN9rocsparseL23check_matrix_csr_deviceILj256ELj64EfllEEvT3_S1_T2_PKT1_PKS2_PKS1_S9_21rocsparse_index_base_22rocsparse_matrix_type_20rocsparse_fill_mode_23rocsparse_storage_mode_P22rocsparse_data_status_
                                        ; -- End function
	.set _ZN9rocsparseL23check_matrix_csr_deviceILj256ELj64EfllEEvT3_S1_T2_PKT1_PKS2_PKS1_S9_21rocsparse_index_base_22rocsparse_matrix_type_20rocsparse_fill_mode_23rocsparse_storage_mode_P22rocsparse_data_status_.num_vgpr, 25
	.set _ZN9rocsparseL23check_matrix_csr_deviceILj256ELj64EfllEEvT3_S1_T2_PKT1_PKS2_PKS1_S9_21rocsparse_index_base_22rocsparse_matrix_type_20rocsparse_fill_mode_23rocsparse_storage_mode_P22rocsparse_data_status_.num_agpr, 0
	.set _ZN9rocsparseL23check_matrix_csr_deviceILj256ELj64EfllEEvT3_S1_T2_PKT1_PKS2_PKS1_S9_21rocsparse_index_base_22rocsparse_matrix_type_20rocsparse_fill_mode_23rocsparse_storage_mode_P22rocsparse_data_status_.numbered_sgpr, 46
	.set _ZN9rocsparseL23check_matrix_csr_deviceILj256ELj64EfllEEvT3_S1_T2_PKT1_PKS2_PKS1_S9_21rocsparse_index_base_22rocsparse_matrix_type_20rocsparse_fill_mode_23rocsparse_storage_mode_P22rocsparse_data_status_.num_named_barrier, 0
	.set _ZN9rocsparseL23check_matrix_csr_deviceILj256ELj64EfllEEvT3_S1_T2_PKT1_PKS2_PKS1_S9_21rocsparse_index_base_22rocsparse_matrix_type_20rocsparse_fill_mode_23rocsparse_storage_mode_P22rocsparse_data_status_.private_seg_size, 0
	.set _ZN9rocsparseL23check_matrix_csr_deviceILj256ELj64EfllEEvT3_S1_T2_PKT1_PKS2_PKS1_S9_21rocsparse_index_base_22rocsparse_matrix_type_20rocsparse_fill_mode_23rocsparse_storage_mode_P22rocsparse_data_status_.uses_vcc, 1
	.set _ZN9rocsparseL23check_matrix_csr_deviceILj256ELj64EfllEEvT3_S1_T2_PKT1_PKS2_PKS1_S9_21rocsparse_index_base_22rocsparse_matrix_type_20rocsparse_fill_mode_23rocsparse_storage_mode_P22rocsparse_data_status_.uses_flat_scratch, 0
	.set _ZN9rocsparseL23check_matrix_csr_deviceILj256ELj64EfllEEvT3_S1_T2_PKT1_PKS2_PKS1_S9_21rocsparse_index_base_22rocsparse_matrix_type_20rocsparse_fill_mode_23rocsparse_storage_mode_P22rocsparse_data_status_.has_dyn_sized_stack, 0
	.set _ZN9rocsparseL23check_matrix_csr_deviceILj256ELj64EfllEEvT3_S1_T2_PKT1_PKS2_PKS1_S9_21rocsparse_index_base_22rocsparse_matrix_type_20rocsparse_fill_mode_23rocsparse_storage_mode_P22rocsparse_data_status_.has_recursion, 0
	.set _ZN9rocsparseL23check_matrix_csr_deviceILj256ELj64EfllEEvT3_S1_T2_PKT1_PKS2_PKS1_S9_21rocsparse_index_base_22rocsparse_matrix_type_20rocsparse_fill_mode_23rocsparse_storage_mode_P22rocsparse_data_status_.has_indirect_call, 0
	.section	.AMDGPU.csdata,"",@progbits
; Kernel info:
; codeLenInByte = 928
; TotalNumSgprs: 50
; NumVgprs: 25
; ScratchSize: 0
; MemoryBound: 0
; FloatMode: 240
; IeeeMode: 1
; LDSByteSize: 0 bytes/workgroup (compile time only)
; SGPRBlocks: 6
; VGPRBlocks: 6
; NumSGPRsForWavesPerEU: 50
; NumVGPRsForWavesPerEU: 25
; Occupancy: 9
; WaveLimiterHint : 0
; COMPUTE_PGM_RSRC2:SCRATCH_EN: 0
; COMPUTE_PGM_RSRC2:USER_SGPR: 6
; COMPUTE_PGM_RSRC2:TRAP_HANDLER: 0
; COMPUTE_PGM_RSRC2:TGID_X_EN: 1
; COMPUTE_PGM_RSRC2:TGID_Y_EN: 0
; COMPUTE_PGM_RSRC2:TGID_Z_EN: 0
; COMPUTE_PGM_RSRC2:TIDIG_COMP_CNT: 0
	.section	.text._ZN9rocsparseL23check_matrix_csr_deviceILj256ELj128EfllEEvT3_S1_T2_PKT1_PKS2_PKS1_S9_21rocsparse_index_base_22rocsparse_matrix_type_20rocsparse_fill_mode_23rocsparse_storage_mode_P22rocsparse_data_status_,"axG",@progbits,_ZN9rocsparseL23check_matrix_csr_deviceILj256ELj128EfllEEvT3_S1_T2_PKT1_PKS2_PKS1_S9_21rocsparse_index_base_22rocsparse_matrix_type_20rocsparse_fill_mode_23rocsparse_storage_mode_P22rocsparse_data_status_,comdat
	.globl	_ZN9rocsparseL23check_matrix_csr_deviceILj256ELj128EfllEEvT3_S1_T2_PKT1_PKS2_PKS1_S9_21rocsparse_index_base_22rocsparse_matrix_type_20rocsparse_fill_mode_23rocsparse_storage_mode_P22rocsparse_data_status_ ; -- Begin function _ZN9rocsparseL23check_matrix_csr_deviceILj256ELj128EfllEEvT3_S1_T2_PKT1_PKS2_PKS1_S9_21rocsparse_index_base_22rocsparse_matrix_type_20rocsparse_fill_mode_23rocsparse_storage_mode_P22rocsparse_data_status_
	.p2align	8
	.type	_ZN9rocsparseL23check_matrix_csr_deviceILj256ELj128EfllEEvT3_S1_T2_PKT1_PKS2_PKS1_S9_21rocsparse_index_base_22rocsparse_matrix_type_20rocsparse_fill_mode_23rocsparse_storage_mode_P22rocsparse_data_status_,@function
_ZN9rocsparseL23check_matrix_csr_deviceILj256ELj128EfllEEvT3_S1_T2_PKT1_PKS2_PKS1_S9_21rocsparse_index_base_22rocsparse_matrix_type_20rocsparse_fill_mode_23rocsparse_storage_mode_P22rocsparse_data_status_: ; @_ZN9rocsparseL23check_matrix_csr_deviceILj256ELj128EfllEEvT3_S1_T2_PKT1_PKS2_PKS1_S9_21rocsparse_index_base_22rocsparse_matrix_type_20rocsparse_fill_mode_23rocsparse_storage_mode_P22rocsparse_data_status_
; %bb.0:
	s_load_dwordx4 s[16:19], s[4:5], 0x0
	v_lshl_or_b32 v1, s6, 8, v0
	v_lshrrev_b32_e32 v1, 7, v1
	v_mov_b32_e32 v2, 0
	s_waitcnt lgkmcnt(0)
	v_cmp_gt_i64_e32 vcc, s[16:17], v[1:2]
	s_and_saveexec_b64 s[0:1], vcc
	s_cbranch_execz .LBB67_31
; %bb.1:
	s_load_dwordx2 s[0:1], s[4:5], 0x20
	v_lshlrev_b32_e32 v3, 3, v1
	v_mov_b32_e32 v19, 3
	s_mov_b64 s[10:11], -1
	s_mov_b64 s[8:9], 0
	s_waitcnt lgkmcnt(0)
	global_load_dwordx4 v[7:10], v3, s[0:1]
	s_load_dwordx2 s[0:1], s[0:1], 0x0
	s_waitcnt lgkmcnt(0)
	v_mov_b32_e32 v6, s1
	s_waitcnt vmcnt(0)
	v_subrev_co_u32_e32 v3, vcc, s0, v7
	v_subb_co_u32_e32 v4, vcc, v8, v6, vcc
	v_subrev_co_u32_e32 v5, vcc, s0, v9
	v_subb_co_u32_e32 v6, vcc, v10, v6, vcc
	v_cmp_gt_i64_e64 s[0:1], 0, v[5:6]
	v_cmp_lt_i64_e64 s[2:3], v[9:10], v[7:8]
	v_cmp_lt_i64_e32 vcc, -1, v[3:4]
	s_or_b64 s[0:1], s[0:1], s[2:3]
	s_xor_b64 s[0:1], s[0:1], -1
	s_and_b64 s[0:1], vcc, s[0:1]
	s_and_saveexec_b64 s[6:7], s[0:1]
	s_cbranch_execz .LBB67_29
; %bb.2:
	v_and_b32_e32 v0, 0x7f, v0
	v_add_co_u32_e32 v7, vcc, v3, v0
	v_addc_co_u32_e32 v8, vcc, 0, v4, vcc
	v_cmp_lt_u64_e32 vcc, v[7:8], v[5:6]
	v_mov_b32_e32 v19, 3
	s_and_saveexec_b64 s[16:17], vcc
	s_cbranch_execz .LBB67_28
; %bb.3:
	s_load_dwordx8 s[8:15], s[4:5], 0x28
	s_load_dwordx2 s[0:1], s[4:5], 0x18
	v_lshlrev_b64 v[13:14], 3, v[7:8]
	v_lshlrev_b64 v[11:12], 2, v[7:8]
                                        ; implicit-def: $sgpr24_sgpr25
                                        ; implicit-def: $sgpr26_sgpr27
	s_waitcnt lgkmcnt(0)
	v_mov_b32_e32 v0, s11
	v_add_co_u32_e32 v9, vcc, s10, v13
	v_addc_co_u32_e32 v0, vcc, v0, v14, vcc
	v_add_co_u32_e32 v9, vcc, -8, v9
	v_addc_co_u32_e32 v10, vcc, -1, v0, vcc
	s_cmp_lg_u32 s13, 0
	v_mov_b32_e32 v0, s1
	v_add_co_u32_e32 v11, vcc, s0, v11
	s_cselect_b64 s[20:21], -1, 0
	s_cmp_lg_u32 s14, 0
	v_addc_co_u32_e32 v12, vcc, v0, v12, vcc
	s_cselect_b64 s[22:23], -1, 0
	s_cmp_lg_u32 s15, 0
	v_mov_b32_e32 v0, s9
	v_add_co_u32_e32 v13, vcc, s8, v13
	s_cselect_b64 s[14:15], -1, 0
	v_addc_co_u32_e32 v14, vcc, v0, v14, vcc
	s_mov_b64 s[8:9], 0
	s_mov_b32 s13, 0x7f800000
                                        ; implicit-def: $sgpr10_sgpr11
	s_branch .LBB67_10
.LBB67_4:                               ;   in Loop: Header=BB67_10 Depth=1
	s_or_b64 exec, exec, s[0:1]
	s_orn2_b64 s[42:43], s[2:3], exec
	s_orn2_b64 s[0:1], s[38:39], exec
.LBB67_5:                               ;   in Loop: Header=BB67_10 Depth=1
	s_or_b64 exec, exec, s[40:41]
	s_orn2_b64 s[2:3], s[42:43], exec
	s_orn2_b64 s[0:1], s[0:1], exec
.LBB67_6:                               ;   in Loop: Header=BB67_10 Depth=1
	s_or_b64 exec, exec, s[36:37]
	s_orn2_b64 s[2:3], s[2:3], exec
	s_orn2_b64 s[0:1], s[0:1], exec
.LBB67_7:                               ;   in Loop: Header=BB67_10 Depth=1
	s_or_b64 exec, exec, s[34:35]
	s_orn2_b64 s[2:3], s[2:3], exec
	s_orn2_b64 s[0:1], s[0:1], exec
.LBB67_8:                               ;   in Loop: Header=BB67_10 Depth=1
	s_or_b64 exec, exec, s[30:31]
	s_andn2_b64 s[26:27], s[26:27], exec
	s_and_b64 s[2:3], s[2:3], exec
	s_or_b64 s[26:27], s[26:27], s[2:3]
	s_andn2_b64 s[2:3], s[24:25], exec
	s_and_b64 s[0:1], s[0:1], exec
	s_or_b64 s[24:25], s[2:3], s[0:1]
.LBB67_9:                               ;   in Loop: Header=BB67_10 Depth=1
	s_or_b64 exec, exec, s[28:29]
	s_and_b64 s[0:1], exec, s[24:25]
	s_or_b64 s[8:9], s[0:1], s[8:9]
	s_andn2_b64 s[0:1], s[10:11], exec
	s_and_b64 s[2:3], s[26:27], exec
	s_or_b64 s[10:11], s[0:1], s[2:3]
	s_andn2_b64 exec, exec, s[8:9]
	s_cbranch_execz .LBB67_27
.LBB67_10:                              ; =>This Inner Loop Header: Depth=1
	global_load_dwordx2 v[15:16], v[13:14], off
	v_mov_b32_e32 v19, 4
	s_or_b64 s[26:27], s[26:27], exec
	s_or_b64 s[24:25], s[24:25], exec
	s_waitcnt vmcnt(0)
	v_subrev_co_u32_e32 v17, vcc, s12, v15
	v_subbrev_co_u32_e32 v18, vcc, 0, v16, vcc
	v_cmp_lt_i64_e32 vcc, -1, v[17:18]
	v_cmp_gt_i64_e64 s[0:1], s[18:19], v[17:18]
	s_and_b64 s[0:1], vcc, s[0:1]
	s_and_saveexec_b64 s[28:29], s[0:1]
	s_cbranch_execz .LBB67_9
; %bb.11:                               ;   in Loop: Header=BB67_10 Depth=1
	v_cmp_le_i64_e64 s[38:39], v[7:8], v[3:4]
	v_cmp_gt_i64_e32 vcc, v[7:8], v[3:4]
	v_mov_b32_e32 v19, 4
	s_mov_b64 s[34:35], s[38:39]
	s_and_saveexec_b64 s[30:31], vcc
	s_cbranch_execz .LBB67_13
; %bb.12:                               ;   in Loop: Header=BB67_10 Depth=1
	global_load_dwordx4 v[19:22], v[9:10], off
	s_waitcnt vmcnt(0)
	v_subrev_co_u32_e32 v23, vcc, s12, v19
	v_subbrev_co_u32_e32 v24, vcc, 0, v20, vcc
	v_cmp_lt_i64_e64 s[0:1], -1, v[23:24]
	v_cmp_gt_i64_e64 s[2:3], s[18:19], v[23:24]
	v_cmp_ne_u64_e32 vcc, v[21:22], v[19:20]
	s_and_b64 s[0:1], s[0:1], s[2:3]
	s_xor_b64 s[0:1], s[0:1], -1
	s_or_b64 s[0:1], vcc, s[0:1]
	s_andn2_b64 s[2:3], s[38:39], exec
	s_and_b64 s[0:1], s[0:1], exec
	v_mov_b32_e32 v19, 5
	s_or_b64 s[34:35], s[2:3], s[0:1]
.LBB67_13:                              ;   in Loop: Header=BB67_10 Depth=1
	s_or_b64 exec, exec, s[30:31]
	s_mov_b64 s[0:1], -1
	s_mov_b64 s[2:3], -1
	s_and_saveexec_b64 s[30:31], s[34:35]
	s_cbranch_execz .LBB67_8
; %bb.14:                               ;   in Loop: Header=BB67_10 Depth=1
	global_load_dword v0, v[11:12], off
	v_mov_b32_e32 v19, 1
	s_waitcnt vmcnt(0)
	v_cmp_neq_f32_e32 vcc, s13, v0
	s_and_saveexec_b64 s[34:35], vcc
	s_cbranch_execz .LBB67_7
; %bb.15:                               ;   in Loop: Header=BB67_10 Depth=1
	v_cmp_o_f32_e32 vcc, v0, v0
	v_mov_b32_e32 v19, 2
	s_and_saveexec_b64 s[36:37], vcc
	s_cbranch_execz .LBB67_6
; %bb.16:                               ;   in Loop: Header=BB67_10 Depth=1
	s_and_b64 vcc, exec, s[20:21]
	s_cbranch_vccz .LBB67_19
; %bb.17:                               ;   in Loop: Header=BB67_10 Depth=1
	s_and_b64 vcc, exec, s[22:23]
	s_cbranch_vccz .LBB67_20
; %bb.18:                               ;   in Loop: Header=BB67_10 Depth=1
	v_cmp_ge_i64_e32 vcc, v[17:18], v[1:2]
	s_mov_b32 s33, 7
	s_and_b64 s[2:3], vcc, exec
	s_cbranch_execz .LBB67_21
	s_branch .LBB67_22
.LBB67_19:                              ;   in Loop: Header=BB67_10 Depth=1
	s_mov_b32 s33, 2
	s_branch .LBB67_22
.LBB67_20:                              ;   in Loop: Header=BB67_10 Depth=1
	s_mov_b64 s[2:3], 0
	s_mov_b32 s33, 2
.LBB67_21:                              ;   in Loop: Header=BB67_10 Depth=1
	v_cmp_le_i64_e32 vcc, v[17:18], v[1:2]
	s_andn2_b64 s[2:3], s[2:3], exec
	s_and_b64 s[40:41], vcc, exec
	s_mov_b32 s33, 7
	s_or_b64 s[2:3], s[2:3], s[40:41]
.LBB67_22:                              ;   in Loop: Header=BB67_10 Depth=1
	v_mov_b32_e32 v19, s33
	s_mov_b64 s[42:43], -1
	s_and_saveexec_b64 s[40:41], s[2:3]
	s_cbranch_execz .LBB67_5
; %bb.23:                               ;   in Loop: Header=BB67_10 Depth=1
	s_nor_b64 s[0:1], s[14:15], s[38:39]
	s_mov_b64 s[38:39], -1
	v_mov_b32_e32 v19, s33
	s_mov_b64 s[44:45], -1
	s_and_saveexec_b64 s[42:43], s[0:1]
	s_cbranch_execz .LBB67_25
; %bb.24:                               ;   in Loop: Header=BB67_10 Depth=1
	global_load_dwordx2 v[17:18], v[13:14], off offset:-8
	s_waitcnt vmcnt(0)
	v_subrev_co_u32_e32 v19, vcc, s12, v17
	v_subbrev_co_u32_e32 v20, vcc, 0, v18, vcc
	v_cmp_lt_i64_e32 vcc, -1, v[19:20]
	v_cmp_gt_i64_e64 s[0:1], s[18:19], v[19:20]
	v_cmp_gt_i64_e64 s[2:3], v[15:16], v[17:18]
	s_and_b64 s[0:1], vcc, s[0:1]
	s_xor_b64 s[0:1], s[0:1], -1
	s_or_b64 s[0:1], s[2:3], s[0:1]
	v_mov_b32_e32 v19, 6
	s_orn2_b64 s[44:45], s[0:1], exec
.LBB67_25:                              ;   in Loop: Header=BB67_10 Depth=1
	s_or_b64 exec, exec, s[42:43]
	s_mov_b64 s[2:3], -1
	s_and_saveexec_b64 s[0:1], s[44:45]
	s_cbranch_execz .LBB67_4
; %bb.26:                               ;   in Loop: Header=BB67_10 Depth=1
	v_add_co_u32_e32 v7, vcc, 0x80, v7
	v_addc_co_u32_e32 v8, vcc, 0, v8, vcc
	v_add_co_u32_e32 v9, vcc, 0x400, v9
	v_addc_co_u32_e32 v10, vcc, 0, v10, vcc
	v_add_co_u32_e32 v11, vcc, 0x200, v11
	v_addc_co_u32_e32 v12, vcc, 0, v12, vcc
	v_add_co_u32_e32 v13, vcc, 0x400, v13
	v_addc_co_u32_e32 v14, vcc, 0, v14, vcc
	v_cmp_ge_i64_e32 vcc, v[7:8], v[5:6]
	s_xor_b64 s[2:3], exec, -1
	s_orn2_b64 s[38:39], vcc, exec
	s_branch .LBB67_4
.LBB67_27:
	s_or_b64 exec, exec, s[8:9]
	s_and_b64 s[8:9], s[10:11], exec
.LBB67_28:
	s_or_b64 exec, exec, s[16:17]
	s_orn2_b64 s[10:11], s[8:9], exec
.LBB67_29:
	s_or_b64 exec, exec, s[6:7]
	s_and_b64 exec, exec, s[10:11]
	s_cbranch_execz .LBB67_31
; %bb.30:
	s_load_dwordx2 s[0:1], s[4:5], 0x48
	v_mov_b32_e32 v0, 0
	s_waitcnt lgkmcnt(0)
	global_store_dword v0, v19, s[0:1]
.LBB67_31:
	s_endpgm
	.section	.rodata,"a",@progbits
	.p2align	6, 0x0
	.amdhsa_kernel _ZN9rocsparseL23check_matrix_csr_deviceILj256ELj128EfllEEvT3_S1_T2_PKT1_PKS2_PKS1_S9_21rocsparse_index_base_22rocsparse_matrix_type_20rocsparse_fill_mode_23rocsparse_storage_mode_P22rocsparse_data_status_
		.amdhsa_group_segment_fixed_size 0
		.amdhsa_private_segment_fixed_size 0
		.amdhsa_kernarg_size 80
		.amdhsa_user_sgpr_count 6
		.amdhsa_user_sgpr_private_segment_buffer 1
		.amdhsa_user_sgpr_dispatch_ptr 0
		.amdhsa_user_sgpr_queue_ptr 0
		.amdhsa_user_sgpr_kernarg_segment_ptr 1
		.amdhsa_user_sgpr_dispatch_id 0
		.amdhsa_user_sgpr_flat_scratch_init 0
		.amdhsa_user_sgpr_private_segment_size 0
		.amdhsa_uses_dynamic_stack 0
		.amdhsa_system_sgpr_private_segment_wavefront_offset 0
		.amdhsa_system_sgpr_workgroup_id_x 1
		.amdhsa_system_sgpr_workgroup_id_y 0
		.amdhsa_system_sgpr_workgroup_id_z 0
		.amdhsa_system_sgpr_workgroup_info 0
		.amdhsa_system_vgpr_workitem_id 0
		.amdhsa_next_free_vgpr 25
		.amdhsa_next_free_sgpr 46
		.amdhsa_reserve_vcc 1
		.amdhsa_reserve_flat_scratch 0
		.amdhsa_float_round_mode_32 0
		.amdhsa_float_round_mode_16_64 0
		.amdhsa_float_denorm_mode_32 3
		.amdhsa_float_denorm_mode_16_64 3
		.amdhsa_dx10_clamp 1
		.amdhsa_ieee_mode 1
		.amdhsa_fp16_overflow 0
		.amdhsa_exception_fp_ieee_invalid_op 0
		.amdhsa_exception_fp_denorm_src 0
		.amdhsa_exception_fp_ieee_div_zero 0
		.amdhsa_exception_fp_ieee_overflow 0
		.amdhsa_exception_fp_ieee_underflow 0
		.amdhsa_exception_fp_ieee_inexact 0
		.amdhsa_exception_int_div_zero 0
	.end_amdhsa_kernel
	.section	.text._ZN9rocsparseL23check_matrix_csr_deviceILj256ELj128EfllEEvT3_S1_T2_PKT1_PKS2_PKS1_S9_21rocsparse_index_base_22rocsparse_matrix_type_20rocsparse_fill_mode_23rocsparse_storage_mode_P22rocsparse_data_status_,"axG",@progbits,_ZN9rocsparseL23check_matrix_csr_deviceILj256ELj128EfllEEvT3_S1_T2_PKT1_PKS2_PKS1_S9_21rocsparse_index_base_22rocsparse_matrix_type_20rocsparse_fill_mode_23rocsparse_storage_mode_P22rocsparse_data_status_,comdat
.Lfunc_end67:
	.size	_ZN9rocsparseL23check_matrix_csr_deviceILj256ELj128EfllEEvT3_S1_T2_PKT1_PKS2_PKS1_S9_21rocsparse_index_base_22rocsparse_matrix_type_20rocsparse_fill_mode_23rocsparse_storage_mode_P22rocsparse_data_status_, .Lfunc_end67-_ZN9rocsparseL23check_matrix_csr_deviceILj256ELj128EfllEEvT3_S1_T2_PKT1_PKS2_PKS1_S9_21rocsparse_index_base_22rocsparse_matrix_type_20rocsparse_fill_mode_23rocsparse_storage_mode_P22rocsparse_data_status_
                                        ; -- End function
	.set _ZN9rocsparseL23check_matrix_csr_deviceILj256ELj128EfllEEvT3_S1_T2_PKT1_PKS2_PKS1_S9_21rocsparse_index_base_22rocsparse_matrix_type_20rocsparse_fill_mode_23rocsparse_storage_mode_P22rocsparse_data_status_.num_vgpr, 25
	.set _ZN9rocsparseL23check_matrix_csr_deviceILj256ELj128EfllEEvT3_S1_T2_PKT1_PKS2_PKS1_S9_21rocsparse_index_base_22rocsparse_matrix_type_20rocsparse_fill_mode_23rocsparse_storage_mode_P22rocsparse_data_status_.num_agpr, 0
	.set _ZN9rocsparseL23check_matrix_csr_deviceILj256ELj128EfllEEvT3_S1_T2_PKT1_PKS2_PKS1_S9_21rocsparse_index_base_22rocsparse_matrix_type_20rocsparse_fill_mode_23rocsparse_storage_mode_P22rocsparse_data_status_.numbered_sgpr, 46
	.set _ZN9rocsparseL23check_matrix_csr_deviceILj256ELj128EfllEEvT3_S1_T2_PKT1_PKS2_PKS1_S9_21rocsparse_index_base_22rocsparse_matrix_type_20rocsparse_fill_mode_23rocsparse_storage_mode_P22rocsparse_data_status_.num_named_barrier, 0
	.set _ZN9rocsparseL23check_matrix_csr_deviceILj256ELj128EfllEEvT3_S1_T2_PKT1_PKS2_PKS1_S9_21rocsparse_index_base_22rocsparse_matrix_type_20rocsparse_fill_mode_23rocsparse_storage_mode_P22rocsparse_data_status_.private_seg_size, 0
	.set _ZN9rocsparseL23check_matrix_csr_deviceILj256ELj128EfllEEvT3_S1_T2_PKT1_PKS2_PKS1_S9_21rocsparse_index_base_22rocsparse_matrix_type_20rocsparse_fill_mode_23rocsparse_storage_mode_P22rocsparse_data_status_.uses_vcc, 1
	.set _ZN9rocsparseL23check_matrix_csr_deviceILj256ELj128EfllEEvT3_S1_T2_PKT1_PKS2_PKS1_S9_21rocsparse_index_base_22rocsparse_matrix_type_20rocsparse_fill_mode_23rocsparse_storage_mode_P22rocsparse_data_status_.uses_flat_scratch, 0
	.set _ZN9rocsparseL23check_matrix_csr_deviceILj256ELj128EfllEEvT3_S1_T2_PKT1_PKS2_PKS1_S9_21rocsparse_index_base_22rocsparse_matrix_type_20rocsparse_fill_mode_23rocsparse_storage_mode_P22rocsparse_data_status_.has_dyn_sized_stack, 0
	.set _ZN9rocsparseL23check_matrix_csr_deviceILj256ELj128EfllEEvT3_S1_T2_PKT1_PKS2_PKS1_S9_21rocsparse_index_base_22rocsparse_matrix_type_20rocsparse_fill_mode_23rocsparse_storage_mode_P22rocsparse_data_status_.has_recursion, 0
	.set _ZN9rocsparseL23check_matrix_csr_deviceILj256ELj128EfllEEvT3_S1_T2_PKT1_PKS2_PKS1_S9_21rocsparse_index_base_22rocsparse_matrix_type_20rocsparse_fill_mode_23rocsparse_storage_mode_P22rocsparse_data_status_.has_indirect_call, 0
	.section	.AMDGPU.csdata,"",@progbits
; Kernel info:
; codeLenInByte = 936
; TotalNumSgprs: 50
; NumVgprs: 25
; ScratchSize: 0
; MemoryBound: 0
; FloatMode: 240
; IeeeMode: 1
; LDSByteSize: 0 bytes/workgroup (compile time only)
; SGPRBlocks: 6
; VGPRBlocks: 6
; NumSGPRsForWavesPerEU: 50
; NumVGPRsForWavesPerEU: 25
; Occupancy: 9
; WaveLimiterHint : 0
; COMPUTE_PGM_RSRC2:SCRATCH_EN: 0
; COMPUTE_PGM_RSRC2:USER_SGPR: 6
; COMPUTE_PGM_RSRC2:TRAP_HANDLER: 0
; COMPUTE_PGM_RSRC2:TGID_X_EN: 1
; COMPUTE_PGM_RSRC2:TGID_Y_EN: 0
; COMPUTE_PGM_RSRC2:TGID_Z_EN: 0
; COMPUTE_PGM_RSRC2:TIDIG_COMP_CNT: 0
	.section	.text._ZN9rocsparseL23check_matrix_csr_deviceILj256ELj256EfllEEvT3_S1_T2_PKT1_PKS2_PKS1_S9_21rocsparse_index_base_22rocsparse_matrix_type_20rocsparse_fill_mode_23rocsparse_storage_mode_P22rocsparse_data_status_,"axG",@progbits,_ZN9rocsparseL23check_matrix_csr_deviceILj256ELj256EfllEEvT3_S1_T2_PKT1_PKS2_PKS1_S9_21rocsparse_index_base_22rocsparse_matrix_type_20rocsparse_fill_mode_23rocsparse_storage_mode_P22rocsparse_data_status_,comdat
	.globl	_ZN9rocsparseL23check_matrix_csr_deviceILj256ELj256EfllEEvT3_S1_T2_PKT1_PKS2_PKS1_S9_21rocsparse_index_base_22rocsparse_matrix_type_20rocsparse_fill_mode_23rocsparse_storage_mode_P22rocsparse_data_status_ ; -- Begin function _ZN9rocsparseL23check_matrix_csr_deviceILj256ELj256EfllEEvT3_S1_T2_PKT1_PKS2_PKS1_S9_21rocsparse_index_base_22rocsparse_matrix_type_20rocsparse_fill_mode_23rocsparse_storage_mode_P22rocsparse_data_status_
	.p2align	8
	.type	_ZN9rocsparseL23check_matrix_csr_deviceILj256ELj256EfllEEvT3_S1_T2_PKT1_PKS2_PKS1_S9_21rocsparse_index_base_22rocsparse_matrix_type_20rocsparse_fill_mode_23rocsparse_storage_mode_P22rocsparse_data_status_,@function
_ZN9rocsparseL23check_matrix_csr_deviceILj256ELj256EfllEEvT3_S1_T2_PKT1_PKS2_PKS1_S9_21rocsparse_index_base_22rocsparse_matrix_type_20rocsparse_fill_mode_23rocsparse_storage_mode_P22rocsparse_data_status_: ; @_ZN9rocsparseL23check_matrix_csr_deviceILj256ELj256EfllEEvT3_S1_T2_PKT1_PKS2_PKS1_S9_21rocsparse_index_base_22rocsparse_matrix_type_20rocsparse_fill_mode_23rocsparse_storage_mode_P22rocsparse_data_status_
; %bb.0:
	s_load_dwordx4 s[16:19], s[4:5], 0x0
	s_and_b32 s6, s6, 0xffffff
	s_mov_b32 s7, 0
	v_mov_b32_e32 v1, s6
	v_mov_b32_e32 v2, s7
	s_waitcnt lgkmcnt(0)
	v_cmp_gt_i64_e32 vcc, s[16:17], v[1:2]
	s_and_saveexec_b64 s[0:1], vcc
	s_cbranch_execz .LBB68_31
; %bb.1:
	s_load_dwordx2 s[0:1], s[4:5], 0x20
	v_mov_b32_e32 v1, s6
	v_lshlrev_b32_e32 v1, 3, v1
	v_mov_b32_e32 v2, s7
	v_mov_b32_e32 v17, 3
	s_waitcnt lgkmcnt(0)
	global_load_dwordx4 v[5:8], v1, s[0:1]
	s_load_dwordx2 s[0:1], s[0:1], 0x0
	s_mov_b64 s[10:11], -1
	s_mov_b64 s[8:9], 0
	s_waitcnt lgkmcnt(0)
	v_mov_b32_e32 v4, s1
	s_waitcnt vmcnt(0)
	v_subrev_co_u32_e32 v1, vcc, s0, v5
	v_subb_co_u32_e32 v2, vcc, v6, v4, vcc
	v_subrev_co_u32_e32 v3, vcc, s0, v7
	v_subb_co_u32_e32 v4, vcc, v8, v4, vcc
	v_cmp_gt_i64_e64 s[0:1], 0, v[3:4]
	v_cmp_lt_i64_e64 s[2:3], v[7:8], v[5:6]
	v_cmp_lt_i64_e32 vcc, -1, v[1:2]
	s_or_b64 s[0:1], s[0:1], s[2:3]
	s_xor_b64 s[0:1], s[0:1], -1
	s_and_b64 s[0:1], vcc, s[0:1]
	s_and_saveexec_b64 s[16:17], s[0:1]
	s_cbranch_execz .LBB68_29
; %bb.2:
	v_add_co_u32_e32 v5, vcc, v1, v0
	v_addc_co_u32_e32 v6, vcc, 0, v2, vcc
	v_cmp_lt_u64_e32 vcc, v[5:6], v[3:4]
	v_mov_b32_e32 v17, 3
	s_and_saveexec_b64 s[20:21], vcc
	s_cbranch_execz .LBB68_28
; %bb.3:
	s_load_dwordx8 s[8:15], s[4:5], 0x28
	s_load_dwordx2 s[0:1], s[4:5], 0x18
	v_lshlrev_b64 v[11:12], 3, v[5:6]
	v_lshlrev_b64 v[9:10], 2, v[5:6]
                                        ; implicit-def: $sgpr26_sgpr27
                                        ; implicit-def: $sgpr28_sgpr29
	s_waitcnt lgkmcnt(0)
	v_mov_b32_e32 v0, s11
	v_add_co_u32_e32 v7, vcc, s10, v11
	v_addc_co_u32_e32 v0, vcc, v0, v12, vcc
	v_add_co_u32_e32 v7, vcc, -8, v7
	v_addc_co_u32_e32 v8, vcc, -1, v0, vcc
	s_cmp_lg_u32 s13, 0
	v_mov_b32_e32 v0, s1
	v_add_co_u32_e32 v9, vcc, s0, v9
	s_cselect_b64 s[22:23], -1, 0
	s_cmp_lg_u32 s14, 0
	v_addc_co_u32_e32 v10, vcc, v0, v10, vcc
	s_cselect_b64 s[24:25], -1, 0
	s_cmp_lg_u32 s15, 0
	v_mov_b32_e32 v0, s9
	v_add_co_u32_e32 v11, vcc, s8, v11
	s_cselect_b64 s[14:15], -1, 0
	v_addc_co_u32_e32 v12, vcc, v0, v12, vcc
	s_mov_b64 s[8:9], 0
	s_mov_b32 s13, 0x7f800000
                                        ; implicit-def: $sgpr10_sgpr11
	s_branch .LBB68_10
.LBB68_4:                               ;   in Loop: Header=BB68_10 Depth=1
	s_or_b64 exec, exec, s[0:1]
	s_orn2_b64 s[44:45], s[2:3], exec
	s_orn2_b64 s[0:1], s[40:41], exec
.LBB68_5:                               ;   in Loop: Header=BB68_10 Depth=1
	s_or_b64 exec, exec, s[42:43]
	s_orn2_b64 s[2:3], s[44:45], exec
	s_orn2_b64 s[0:1], s[0:1], exec
.LBB68_6:                               ;   in Loop: Header=BB68_10 Depth=1
	s_or_b64 exec, exec, s[38:39]
	s_orn2_b64 s[2:3], s[2:3], exec
	s_orn2_b64 s[0:1], s[0:1], exec
.LBB68_7:                               ;   in Loop: Header=BB68_10 Depth=1
	s_or_b64 exec, exec, s[36:37]
	s_orn2_b64 s[2:3], s[2:3], exec
	s_orn2_b64 s[0:1], s[0:1], exec
.LBB68_8:                               ;   in Loop: Header=BB68_10 Depth=1
	s_or_b64 exec, exec, s[34:35]
	s_andn2_b64 s[28:29], s[28:29], exec
	s_and_b64 s[2:3], s[2:3], exec
	s_or_b64 s[28:29], s[28:29], s[2:3]
	s_andn2_b64 s[2:3], s[26:27], exec
	s_and_b64 s[0:1], s[0:1], exec
	s_or_b64 s[26:27], s[2:3], s[0:1]
.LBB68_9:                               ;   in Loop: Header=BB68_10 Depth=1
	s_or_b64 exec, exec, s[30:31]
	s_and_b64 s[0:1], exec, s[26:27]
	s_or_b64 s[8:9], s[0:1], s[8:9]
	s_andn2_b64 s[0:1], s[10:11], exec
	s_and_b64 s[2:3], s[28:29], exec
	s_or_b64 s[10:11], s[0:1], s[2:3]
	s_andn2_b64 exec, exec, s[8:9]
	s_cbranch_execz .LBB68_27
.LBB68_10:                              ; =>This Inner Loop Header: Depth=1
	global_load_dwordx2 v[13:14], v[11:12], off
	v_mov_b32_e32 v17, 4
	s_or_b64 s[28:29], s[28:29], exec
	s_or_b64 s[26:27], s[26:27], exec
	s_waitcnt vmcnt(0)
	v_subrev_co_u32_e32 v15, vcc, s12, v13
	v_subbrev_co_u32_e32 v16, vcc, 0, v14, vcc
	v_cmp_lt_i64_e32 vcc, -1, v[15:16]
	v_cmp_gt_i64_e64 s[0:1], s[18:19], v[15:16]
	s_and_b64 s[0:1], vcc, s[0:1]
	s_and_saveexec_b64 s[30:31], s[0:1]
	s_cbranch_execz .LBB68_9
; %bb.11:                               ;   in Loop: Header=BB68_10 Depth=1
	v_cmp_le_i64_e64 s[40:41], v[5:6], v[1:2]
	v_cmp_gt_i64_e32 vcc, v[5:6], v[1:2]
	v_mov_b32_e32 v17, 4
	s_mov_b64 s[36:37], s[40:41]
	s_and_saveexec_b64 s[34:35], vcc
	s_cbranch_execz .LBB68_13
; %bb.12:                               ;   in Loop: Header=BB68_10 Depth=1
	global_load_dwordx4 v[18:21], v[7:8], off
	v_mov_b32_e32 v17, 5
	s_waitcnt vmcnt(0)
	v_subrev_co_u32_e32 v22, vcc, s12, v18
	v_subbrev_co_u32_e32 v23, vcc, 0, v19, vcc
	v_cmp_lt_i64_e32 vcc, -1, v[22:23]
	v_cmp_gt_i64_e64 s[0:1], s[18:19], v[22:23]
	v_cmp_ne_u64_e64 s[2:3], v[20:21], v[18:19]
	s_and_b64 s[0:1], vcc, s[0:1]
	s_xor_b64 s[0:1], s[0:1], -1
	s_or_b64 s[0:1], s[2:3], s[0:1]
	s_andn2_b64 s[2:3], s[40:41], exec
	s_and_b64 s[0:1], s[0:1], exec
	s_or_b64 s[36:37], s[2:3], s[0:1]
.LBB68_13:                              ;   in Loop: Header=BB68_10 Depth=1
	s_or_b64 exec, exec, s[34:35]
	s_mov_b64 s[0:1], -1
	s_mov_b64 s[2:3], -1
	s_and_saveexec_b64 s[34:35], s[36:37]
	s_cbranch_execz .LBB68_8
; %bb.14:                               ;   in Loop: Header=BB68_10 Depth=1
	global_load_dword v0, v[9:10], off
	v_mov_b32_e32 v17, 1
	s_waitcnt vmcnt(0)
	v_cmp_neq_f32_e32 vcc, s13, v0
	s_and_saveexec_b64 s[36:37], vcc
	s_cbranch_execz .LBB68_7
; %bb.15:                               ;   in Loop: Header=BB68_10 Depth=1
	v_cmp_o_f32_e32 vcc, v0, v0
	v_mov_b32_e32 v17, 2
	s_and_saveexec_b64 s[38:39], vcc
	s_cbranch_execz .LBB68_6
; %bb.16:                               ;   in Loop: Header=BB68_10 Depth=1
	s_and_b64 vcc, exec, s[22:23]
	s_cbranch_vccz .LBB68_19
; %bb.17:                               ;   in Loop: Header=BB68_10 Depth=1
	s_and_b64 vcc, exec, s[24:25]
	s_cbranch_vccz .LBB68_20
; %bb.18:                               ;   in Loop: Header=BB68_10 Depth=1
	v_cmp_le_i64_e32 vcc, s[6:7], v[15:16]
	s_mov_b32 s33, 7
	s_and_b64 s[2:3], vcc, exec
	s_cbranch_execz .LBB68_21
	s_branch .LBB68_22
.LBB68_19:                              ;   in Loop: Header=BB68_10 Depth=1
	s_mov_b32 s33, 2
	s_branch .LBB68_22
.LBB68_20:                              ;   in Loop: Header=BB68_10 Depth=1
	s_mov_b64 s[2:3], 0
	s_mov_b32 s33, 2
.LBB68_21:                              ;   in Loop: Header=BB68_10 Depth=1
	v_cmp_ge_i64_e32 vcc, s[6:7], v[15:16]
	s_andn2_b64 s[2:3], s[2:3], exec
	s_and_b64 s[42:43], vcc, exec
	s_mov_b32 s33, 7
	s_or_b64 s[2:3], s[2:3], s[42:43]
.LBB68_22:                              ;   in Loop: Header=BB68_10 Depth=1
	v_mov_b32_e32 v17, s33
	s_mov_b64 s[44:45], -1
	s_and_saveexec_b64 s[42:43], s[2:3]
	s_cbranch_execz .LBB68_5
; %bb.23:                               ;   in Loop: Header=BB68_10 Depth=1
	s_nor_b64 s[0:1], s[14:15], s[40:41]
	s_mov_b64 s[40:41], -1
	v_mov_b32_e32 v17, s33
	s_mov_b64 s[46:47], -1
	s_and_saveexec_b64 s[44:45], s[0:1]
	s_cbranch_execz .LBB68_25
; %bb.24:                               ;   in Loop: Header=BB68_10 Depth=1
	global_load_dwordx2 v[15:16], v[11:12], off offset:-8
	s_waitcnt vmcnt(0)
	v_subrev_co_u32_e32 v17, vcc, s12, v15
	v_subbrev_co_u32_e32 v18, vcc, 0, v16, vcc
	v_cmp_lt_i64_e32 vcc, -1, v[17:18]
	v_cmp_gt_i64_e64 s[0:1], s[18:19], v[17:18]
	v_cmp_gt_i64_e64 s[2:3], v[13:14], v[15:16]
	s_and_b64 s[0:1], vcc, s[0:1]
	s_xor_b64 s[0:1], s[0:1], -1
	s_or_b64 s[0:1], s[2:3], s[0:1]
	v_mov_b32_e32 v17, 6
	s_orn2_b64 s[46:47], s[0:1], exec
.LBB68_25:                              ;   in Loop: Header=BB68_10 Depth=1
	s_or_b64 exec, exec, s[44:45]
	s_mov_b64 s[2:3], -1
	s_and_saveexec_b64 s[0:1], s[46:47]
	s_cbranch_execz .LBB68_4
; %bb.26:                               ;   in Loop: Header=BB68_10 Depth=1
	v_add_co_u32_e32 v5, vcc, 0x100, v5
	v_addc_co_u32_e32 v6, vcc, 0, v6, vcc
	v_add_co_u32_e32 v7, vcc, 0x800, v7
	v_addc_co_u32_e32 v8, vcc, 0, v8, vcc
	;; [unrolled: 2-line block ×4, first 2 shown]
	v_cmp_ge_i64_e32 vcc, v[5:6], v[3:4]
	s_xor_b64 s[2:3], exec, -1
	s_orn2_b64 s[40:41], vcc, exec
	s_branch .LBB68_4
.LBB68_27:
	s_or_b64 exec, exec, s[8:9]
	s_and_b64 s[8:9], s[10:11], exec
.LBB68_28:
	s_or_b64 exec, exec, s[20:21]
	s_orn2_b64 s[10:11], s[8:9], exec
.LBB68_29:
	s_or_b64 exec, exec, s[16:17]
	s_and_b64 exec, exec, s[10:11]
	s_cbranch_execz .LBB68_31
; %bb.30:
	s_load_dwordx2 s[0:1], s[4:5], 0x48
	v_mov_b32_e32 v0, 0
	s_waitcnt lgkmcnt(0)
	global_store_dword v0, v17, s[0:1]
.LBB68_31:
	s_endpgm
	.section	.rodata,"a",@progbits
	.p2align	6, 0x0
	.amdhsa_kernel _ZN9rocsparseL23check_matrix_csr_deviceILj256ELj256EfllEEvT3_S1_T2_PKT1_PKS2_PKS1_S9_21rocsparse_index_base_22rocsparse_matrix_type_20rocsparse_fill_mode_23rocsparse_storage_mode_P22rocsparse_data_status_
		.amdhsa_group_segment_fixed_size 0
		.amdhsa_private_segment_fixed_size 0
		.amdhsa_kernarg_size 80
		.amdhsa_user_sgpr_count 6
		.amdhsa_user_sgpr_private_segment_buffer 1
		.amdhsa_user_sgpr_dispatch_ptr 0
		.amdhsa_user_sgpr_queue_ptr 0
		.amdhsa_user_sgpr_kernarg_segment_ptr 1
		.amdhsa_user_sgpr_dispatch_id 0
		.amdhsa_user_sgpr_flat_scratch_init 0
		.amdhsa_user_sgpr_private_segment_size 0
		.amdhsa_uses_dynamic_stack 0
		.amdhsa_system_sgpr_private_segment_wavefront_offset 0
		.amdhsa_system_sgpr_workgroup_id_x 1
		.amdhsa_system_sgpr_workgroup_id_y 0
		.amdhsa_system_sgpr_workgroup_id_z 0
		.amdhsa_system_sgpr_workgroup_info 0
		.amdhsa_system_vgpr_workitem_id 0
		.amdhsa_next_free_vgpr 24
		.amdhsa_next_free_sgpr 48
		.amdhsa_reserve_vcc 1
		.amdhsa_reserve_flat_scratch 0
		.amdhsa_float_round_mode_32 0
		.amdhsa_float_round_mode_16_64 0
		.amdhsa_float_denorm_mode_32 3
		.amdhsa_float_denorm_mode_16_64 3
		.amdhsa_dx10_clamp 1
		.amdhsa_ieee_mode 1
		.amdhsa_fp16_overflow 0
		.amdhsa_exception_fp_ieee_invalid_op 0
		.amdhsa_exception_fp_denorm_src 0
		.amdhsa_exception_fp_ieee_div_zero 0
		.amdhsa_exception_fp_ieee_overflow 0
		.amdhsa_exception_fp_ieee_underflow 0
		.amdhsa_exception_fp_ieee_inexact 0
		.amdhsa_exception_int_div_zero 0
	.end_amdhsa_kernel
	.section	.text._ZN9rocsparseL23check_matrix_csr_deviceILj256ELj256EfllEEvT3_S1_T2_PKT1_PKS2_PKS1_S9_21rocsparse_index_base_22rocsparse_matrix_type_20rocsparse_fill_mode_23rocsparse_storage_mode_P22rocsparse_data_status_,"axG",@progbits,_ZN9rocsparseL23check_matrix_csr_deviceILj256ELj256EfllEEvT3_S1_T2_PKT1_PKS2_PKS1_S9_21rocsparse_index_base_22rocsparse_matrix_type_20rocsparse_fill_mode_23rocsparse_storage_mode_P22rocsparse_data_status_,comdat
.Lfunc_end68:
	.size	_ZN9rocsparseL23check_matrix_csr_deviceILj256ELj256EfllEEvT3_S1_T2_PKT1_PKS2_PKS1_S9_21rocsparse_index_base_22rocsparse_matrix_type_20rocsparse_fill_mode_23rocsparse_storage_mode_P22rocsparse_data_status_, .Lfunc_end68-_ZN9rocsparseL23check_matrix_csr_deviceILj256ELj256EfllEEvT3_S1_T2_PKT1_PKS2_PKS1_S9_21rocsparse_index_base_22rocsparse_matrix_type_20rocsparse_fill_mode_23rocsparse_storage_mode_P22rocsparse_data_status_
                                        ; -- End function
	.set _ZN9rocsparseL23check_matrix_csr_deviceILj256ELj256EfllEEvT3_S1_T2_PKT1_PKS2_PKS1_S9_21rocsparse_index_base_22rocsparse_matrix_type_20rocsparse_fill_mode_23rocsparse_storage_mode_P22rocsparse_data_status_.num_vgpr, 24
	.set _ZN9rocsparseL23check_matrix_csr_deviceILj256ELj256EfllEEvT3_S1_T2_PKT1_PKS2_PKS1_S9_21rocsparse_index_base_22rocsparse_matrix_type_20rocsparse_fill_mode_23rocsparse_storage_mode_P22rocsparse_data_status_.num_agpr, 0
	.set _ZN9rocsparseL23check_matrix_csr_deviceILj256ELj256EfllEEvT3_S1_T2_PKT1_PKS2_PKS1_S9_21rocsparse_index_base_22rocsparse_matrix_type_20rocsparse_fill_mode_23rocsparse_storage_mode_P22rocsparse_data_status_.numbered_sgpr, 48
	.set _ZN9rocsparseL23check_matrix_csr_deviceILj256ELj256EfllEEvT3_S1_T2_PKT1_PKS2_PKS1_S9_21rocsparse_index_base_22rocsparse_matrix_type_20rocsparse_fill_mode_23rocsparse_storage_mode_P22rocsparse_data_status_.num_named_barrier, 0
	.set _ZN9rocsparseL23check_matrix_csr_deviceILj256ELj256EfllEEvT3_S1_T2_PKT1_PKS2_PKS1_S9_21rocsparse_index_base_22rocsparse_matrix_type_20rocsparse_fill_mode_23rocsparse_storage_mode_P22rocsparse_data_status_.private_seg_size, 0
	.set _ZN9rocsparseL23check_matrix_csr_deviceILj256ELj256EfllEEvT3_S1_T2_PKT1_PKS2_PKS1_S9_21rocsparse_index_base_22rocsparse_matrix_type_20rocsparse_fill_mode_23rocsparse_storage_mode_P22rocsparse_data_status_.uses_vcc, 1
	.set _ZN9rocsparseL23check_matrix_csr_deviceILj256ELj256EfllEEvT3_S1_T2_PKT1_PKS2_PKS1_S9_21rocsparse_index_base_22rocsparse_matrix_type_20rocsparse_fill_mode_23rocsparse_storage_mode_P22rocsparse_data_status_.uses_flat_scratch, 0
	.set _ZN9rocsparseL23check_matrix_csr_deviceILj256ELj256EfllEEvT3_S1_T2_PKT1_PKS2_PKS1_S9_21rocsparse_index_base_22rocsparse_matrix_type_20rocsparse_fill_mode_23rocsparse_storage_mode_P22rocsparse_data_status_.has_dyn_sized_stack, 0
	.set _ZN9rocsparseL23check_matrix_csr_deviceILj256ELj256EfllEEvT3_S1_T2_PKT1_PKS2_PKS1_S9_21rocsparse_index_base_22rocsparse_matrix_type_20rocsparse_fill_mode_23rocsparse_storage_mode_P22rocsparse_data_status_.has_recursion, 0
	.set _ZN9rocsparseL23check_matrix_csr_deviceILj256ELj256EfllEEvT3_S1_T2_PKT1_PKS2_PKS1_S9_21rocsparse_index_base_22rocsparse_matrix_type_20rocsparse_fill_mode_23rocsparse_storage_mode_P22rocsparse_data_status_.has_indirect_call, 0
	.section	.AMDGPU.csdata,"",@progbits
; Kernel info:
; codeLenInByte = 940
; TotalNumSgprs: 52
; NumVgprs: 24
; ScratchSize: 0
; MemoryBound: 0
; FloatMode: 240
; IeeeMode: 1
; LDSByteSize: 0 bytes/workgroup (compile time only)
; SGPRBlocks: 6
; VGPRBlocks: 5
; NumSGPRsForWavesPerEU: 52
; NumVGPRsForWavesPerEU: 24
; Occupancy: 10
; WaveLimiterHint : 0
; COMPUTE_PGM_RSRC2:SCRATCH_EN: 0
; COMPUTE_PGM_RSRC2:USER_SGPR: 6
; COMPUTE_PGM_RSRC2:TRAP_HANDLER: 0
; COMPUTE_PGM_RSRC2:TGID_X_EN: 1
; COMPUTE_PGM_RSRC2:TGID_Y_EN: 0
; COMPUTE_PGM_RSRC2:TGID_Z_EN: 0
; COMPUTE_PGM_RSRC2:TIDIG_COMP_CNT: 0
	.section	.text._ZN9rocsparseL23check_matrix_csr_deviceILj256ELj4EdllEEvT3_S1_T2_PKT1_PKS2_PKS1_S9_21rocsparse_index_base_22rocsparse_matrix_type_20rocsparse_fill_mode_23rocsparse_storage_mode_P22rocsparse_data_status_,"axG",@progbits,_ZN9rocsparseL23check_matrix_csr_deviceILj256ELj4EdllEEvT3_S1_T2_PKT1_PKS2_PKS1_S9_21rocsparse_index_base_22rocsparse_matrix_type_20rocsparse_fill_mode_23rocsparse_storage_mode_P22rocsparse_data_status_,comdat
	.globl	_ZN9rocsparseL23check_matrix_csr_deviceILj256ELj4EdllEEvT3_S1_T2_PKT1_PKS2_PKS1_S9_21rocsparse_index_base_22rocsparse_matrix_type_20rocsparse_fill_mode_23rocsparse_storage_mode_P22rocsparse_data_status_ ; -- Begin function _ZN9rocsparseL23check_matrix_csr_deviceILj256ELj4EdllEEvT3_S1_T2_PKT1_PKS2_PKS1_S9_21rocsparse_index_base_22rocsparse_matrix_type_20rocsparse_fill_mode_23rocsparse_storage_mode_P22rocsparse_data_status_
	.p2align	8
	.type	_ZN9rocsparseL23check_matrix_csr_deviceILj256ELj4EdllEEvT3_S1_T2_PKT1_PKS2_PKS1_S9_21rocsparse_index_base_22rocsparse_matrix_type_20rocsparse_fill_mode_23rocsparse_storage_mode_P22rocsparse_data_status_,@function
_ZN9rocsparseL23check_matrix_csr_deviceILj256ELj4EdllEEvT3_S1_T2_PKT1_PKS2_PKS1_S9_21rocsparse_index_base_22rocsparse_matrix_type_20rocsparse_fill_mode_23rocsparse_storage_mode_P22rocsparse_data_status_: ; @_ZN9rocsparseL23check_matrix_csr_deviceILj256ELj4EdllEEvT3_S1_T2_PKT1_PKS2_PKS1_S9_21rocsparse_index_base_22rocsparse_matrix_type_20rocsparse_fill_mode_23rocsparse_storage_mode_P22rocsparse_data_status_
; %bb.0:
	s_load_dwordx4 s[16:19], s[4:5], 0x0
	v_lshl_or_b32 v1, s6, 8, v0
	v_lshrrev_b32_e32 v1, 2, v1
	v_mov_b32_e32 v2, 0
	s_waitcnt lgkmcnt(0)
	v_cmp_gt_i64_e32 vcc, s[16:17], v[1:2]
	s_and_saveexec_b64 s[0:1], vcc
	s_cbranch_execz .LBB69_31
; %bb.1:
	s_load_dwordx2 s[0:1], s[4:5], 0x20
	v_lshlrev_b64 v[3:4], 3, v[1:2]
	v_mov_b32_e32 v21, 3
	s_mov_b64 s[10:11], -1
	s_mov_b64 s[8:9], 0
	s_waitcnt lgkmcnt(0)
	v_mov_b32_e32 v5, s1
	v_add_co_u32_e32 v3, vcc, s0, v3
	v_addc_co_u32_e32 v4, vcc, v5, v4, vcc
	global_load_dwordx4 v[7:10], v[3:4], off
	s_load_dwordx2 s[0:1], s[0:1], 0x0
	s_waitcnt lgkmcnt(0)
	v_mov_b32_e32 v6, s1
	s_waitcnt vmcnt(0)
	v_subrev_co_u32_e32 v3, vcc, s0, v7
	v_subb_co_u32_e32 v4, vcc, v8, v6, vcc
	v_subrev_co_u32_e32 v5, vcc, s0, v9
	v_subb_co_u32_e32 v6, vcc, v10, v6, vcc
	v_cmp_gt_i64_e64 s[0:1], 0, v[5:6]
	v_cmp_lt_i64_e64 s[2:3], v[9:10], v[7:8]
	v_cmp_lt_i64_e32 vcc, -1, v[3:4]
	s_or_b64 s[0:1], s[0:1], s[2:3]
	s_xor_b64 s[0:1], s[0:1], -1
	s_and_b64 s[0:1], vcc, s[0:1]
	s_and_saveexec_b64 s[6:7], s[0:1]
	s_cbranch_execz .LBB69_29
; %bb.2:
	v_and_b32_e32 v0, 3, v0
	v_add_co_u32_e32 v7, vcc, v3, v0
	v_addc_co_u32_e32 v8, vcc, 0, v4, vcc
	v_cmp_lt_u64_e32 vcc, v[7:8], v[5:6]
	v_mov_b32_e32 v21, 3
	s_and_saveexec_b64 s[16:17], vcc
	s_cbranch_execz .LBB69_28
; %bb.3:
	s_load_dwordx8 s[8:15], s[4:5], 0x28
	s_load_dwordx2 s[0:1], s[4:5], 0x18
	v_lshlrev_b64 v[13:14], 3, v[7:8]
                                        ; implicit-def: $sgpr24_sgpr25
                                        ; implicit-def: $sgpr26_sgpr27
                                        ; implicit-def: $sgpr28_sgpr29
	s_waitcnt lgkmcnt(0)
	v_mov_b32_e32 v0, s11
	v_add_co_u32_e32 v9, vcc, s10, v13
	v_addc_co_u32_e32 v0, vcc, v0, v14, vcc
	v_add_co_u32_e32 v9, vcc, -8, v9
	v_addc_co_u32_e32 v10, vcc, -1, v0, vcc
	s_cmp_lg_u32 s13, 0
	v_mov_b32_e32 v0, s1
	v_add_co_u32_e32 v11, vcc, s0, v13
	s_cselect_b64 s[20:21], -1, 0
	s_cmp_lg_u32 s14, 0
	v_addc_co_u32_e32 v12, vcc, v0, v14, vcc
	s_cselect_b64 s[22:23], -1, 0
	s_cmp_lg_u32 s15, 0
	v_mov_b32_e32 v0, s9
	v_add_co_u32_e32 v13, vcc, s8, v13
	s_mov_b32 s10, 0
	s_cselect_b64 s[14:15], -1, 0
	v_addc_co_u32_e32 v14, vcc, v0, v14, vcc
	s_mov_b32 s11, 0x7ff00000
	s_mov_b64 s[8:9], 0
	s_branch .LBB69_10
.LBB69_4:                               ;   in Loop: Header=BB69_10 Depth=1
	s_or_b64 exec, exec, s[0:1]
	s_orn2_b64 s[44:45], s[2:3], exec
	s_orn2_b64 s[0:1], s[40:41], exec
.LBB69_5:                               ;   in Loop: Header=BB69_10 Depth=1
	s_or_b64 exec, exec, s[42:43]
	s_orn2_b64 s[2:3], s[44:45], exec
	s_orn2_b64 s[0:1], s[0:1], exec
.LBB69_6:                               ;   in Loop: Header=BB69_10 Depth=1
	s_or_b64 exec, exec, s[38:39]
	s_orn2_b64 s[2:3], s[2:3], exec
	s_orn2_b64 s[0:1], s[0:1], exec
.LBB69_7:                               ;   in Loop: Header=BB69_10 Depth=1
	s_or_b64 exec, exec, s[36:37]
	s_orn2_b64 s[2:3], s[2:3], exec
	s_orn2_b64 s[0:1], s[0:1], exec
.LBB69_8:                               ;   in Loop: Header=BB69_10 Depth=1
	s_or_b64 exec, exec, s[34:35]
	s_andn2_b64 s[28:29], s[28:29], exec
	s_and_b64 s[2:3], s[2:3], exec
	s_or_b64 s[28:29], s[28:29], s[2:3]
	s_andn2_b64 s[2:3], s[26:27], exec
	s_and_b64 s[0:1], s[0:1], exec
	s_or_b64 s[26:27], s[2:3], s[0:1]
.LBB69_9:                               ;   in Loop: Header=BB69_10 Depth=1
	s_or_b64 exec, exec, s[30:31]
	s_and_b64 s[0:1], exec, s[26:27]
	s_or_b64 s[8:9], s[0:1], s[8:9]
	s_andn2_b64 s[0:1], s[24:25], exec
	s_and_b64 s[2:3], s[28:29], exec
	s_or_b64 s[24:25], s[0:1], s[2:3]
	s_andn2_b64 exec, exec, s[8:9]
	s_cbranch_execz .LBB69_27
.LBB69_10:                              ; =>This Inner Loop Header: Depth=1
	global_load_dwordx2 v[15:16], v[13:14], off
	v_mov_b32_e32 v21, 4
	s_or_b64 s[28:29], s[28:29], exec
	s_or_b64 s[26:27], s[26:27], exec
	s_waitcnt vmcnt(0)
	v_subrev_co_u32_e32 v17, vcc, s12, v15
	v_subbrev_co_u32_e32 v18, vcc, 0, v16, vcc
	v_cmp_lt_i64_e32 vcc, -1, v[17:18]
	v_cmp_gt_i64_e64 s[0:1], s[18:19], v[17:18]
	s_and_b64 s[0:1], vcc, s[0:1]
	s_and_saveexec_b64 s[30:31], s[0:1]
	s_cbranch_execz .LBB69_9
; %bb.11:                               ;   in Loop: Header=BB69_10 Depth=1
	v_cmp_le_i64_e64 s[40:41], v[7:8], v[3:4]
	v_cmp_gt_i64_e32 vcc, v[7:8], v[3:4]
	v_mov_b32_e32 v21, 4
	s_mov_b64 s[36:37], s[40:41]
	s_and_saveexec_b64 s[34:35], vcc
	s_cbranch_execz .LBB69_13
; %bb.12:                               ;   in Loop: Header=BB69_10 Depth=1
	global_load_dwordx4 v[19:22], v[9:10], off
	s_waitcnt vmcnt(0)
	v_subrev_co_u32_e32 v23, vcc, s12, v19
	v_subbrev_co_u32_e32 v24, vcc, 0, v20, vcc
	v_cmp_lt_i64_e64 s[0:1], -1, v[23:24]
	v_cmp_gt_i64_e64 s[2:3], s[18:19], v[23:24]
	v_cmp_ne_u64_e32 vcc, v[21:22], v[19:20]
	s_and_b64 s[0:1], s[0:1], s[2:3]
	s_xor_b64 s[0:1], s[0:1], -1
	s_or_b64 s[0:1], vcc, s[0:1]
	s_andn2_b64 s[2:3], s[40:41], exec
	s_and_b64 s[0:1], s[0:1], exec
	v_mov_b32_e32 v21, 5
	s_or_b64 s[36:37], s[2:3], s[0:1]
.LBB69_13:                              ;   in Loop: Header=BB69_10 Depth=1
	s_or_b64 exec, exec, s[34:35]
	s_mov_b64 s[0:1], -1
	s_mov_b64 s[2:3], -1
	s_and_saveexec_b64 s[34:35], s[36:37]
	s_cbranch_execz .LBB69_8
; %bb.14:                               ;   in Loop: Header=BB69_10 Depth=1
	global_load_dwordx2 v[19:20], v[11:12], off
	v_mov_b32_e32 v21, 1
	s_waitcnt vmcnt(0)
	v_cmp_neq_f64_e32 vcc, s[10:11], v[19:20]
	s_and_saveexec_b64 s[36:37], vcc
	s_cbranch_execz .LBB69_7
; %bb.15:                               ;   in Loop: Header=BB69_10 Depth=1
	v_cmp_o_f64_e32 vcc, v[19:20], v[19:20]
	v_mov_b32_e32 v21, 2
	s_and_saveexec_b64 s[38:39], vcc
	s_cbranch_execz .LBB69_6
; %bb.16:                               ;   in Loop: Header=BB69_10 Depth=1
	s_and_b64 vcc, exec, s[20:21]
	s_cbranch_vccz .LBB69_19
; %bb.17:                               ;   in Loop: Header=BB69_10 Depth=1
	s_and_b64 vcc, exec, s[22:23]
	s_cbranch_vccz .LBB69_20
; %bb.18:                               ;   in Loop: Header=BB69_10 Depth=1
	v_cmp_ge_i64_e32 vcc, v[17:18], v[1:2]
	s_mov_b32 s13, 7
	s_and_b64 s[2:3], vcc, exec
	s_cbranch_execz .LBB69_21
	s_branch .LBB69_22
.LBB69_19:                              ;   in Loop: Header=BB69_10 Depth=1
	s_mov_b32 s13, 2
	s_branch .LBB69_22
.LBB69_20:                              ;   in Loop: Header=BB69_10 Depth=1
	s_mov_b64 s[2:3], 0
	s_mov_b32 s13, 2
.LBB69_21:                              ;   in Loop: Header=BB69_10 Depth=1
	v_cmp_le_i64_e32 vcc, v[17:18], v[1:2]
	s_andn2_b64 s[2:3], s[2:3], exec
	s_and_b64 s[42:43], vcc, exec
	s_mov_b32 s13, 7
	s_or_b64 s[2:3], s[2:3], s[42:43]
.LBB69_22:                              ;   in Loop: Header=BB69_10 Depth=1
	v_mov_b32_e32 v21, s13
	s_mov_b64 s[44:45], -1
	s_and_saveexec_b64 s[42:43], s[2:3]
	s_cbranch_execz .LBB69_5
; %bb.23:                               ;   in Loop: Header=BB69_10 Depth=1
	s_nor_b64 s[0:1], s[14:15], s[40:41]
	s_mov_b64 s[40:41], -1
	v_mov_b32_e32 v21, s13
	s_mov_b64 s[46:47], -1
	s_and_saveexec_b64 s[44:45], s[0:1]
	s_cbranch_execz .LBB69_25
; %bb.24:                               ;   in Loop: Header=BB69_10 Depth=1
	global_load_dwordx2 v[17:18], v[13:14], off offset:-8
	v_mov_b32_e32 v21, 6
	s_waitcnt vmcnt(0)
	v_subrev_co_u32_e32 v19, vcc, s12, v17
	v_subbrev_co_u32_e32 v20, vcc, 0, v18, vcc
	v_cmp_lt_i64_e32 vcc, -1, v[19:20]
	v_cmp_gt_i64_e64 s[0:1], s[18:19], v[19:20]
	v_cmp_gt_i64_e64 s[2:3], v[15:16], v[17:18]
	s_and_b64 s[0:1], vcc, s[0:1]
	s_xor_b64 s[0:1], s[0:1], -1
	s_or_b64 s[0:1], s[2:3], s[0:1]
	s_orn2_b64 s[46:47], s[0:1], exec
.LBB69_25:                              ;   in Loop: Header=BB69_10 Depth=1
	s_or_b64 exec, exec, s[44:45]
	s_mov_b64 s[2:3], -1
	s_and_saveexec_b64 s[0:1], s[46:47]
	s_cbranch_execz .LBB69_4
; %bb.26:                               ;   in Loop: Header=BB69_10 Depth=1
	v_add_co_u32_e32 v7, vcc, 4, v7
	v_addc_co_u32_e32 v8, vcc, 0, v8, vcc
	v_add_co_u32_e32 v9, vcc, 32, v9
	v_addc_co_u32_e32 v10, vcc, 0, v10, vcc
	;; [unrolled: 2-line block ×4, first 2 shown]
	v_cmp_ge_i64_e32 vcc, v[7:8], v[5:6]
	s_xor_b64 s[2:3], exec, -1
	s_orn2_b64 s[40:41], vcc, exec
	s_branch .LBB69_4
.LBB69_27:
	s_or_b64 exec, exec, s[8:9]
	s_and_b64 s[8:9], s[24:25], exec
.LBB69_28:
	s_or_b64 exec, exec, s[16:17]
	s_orn2_b64 s[10:11], s[8:9], exec
.LBB69_29:
	s_or_b64 exec, exec, s[6:7]
	s_and_b64 exec, exec, s[10:11]
	s_cbranch_execz .LBB69_31
; %bb.30:
	s_load_dwordx2 s[0:1], s[4:5], 0x48
	v_mov_b32_e32 v0, 0
	s_waitcnt lgkmcnt(0)
	global_store_dword v0, v21, s[0:1]
.LBB69_31:
	s_endpgm
	.section	.rodata,"a",@progbits
	.p2align	6, 0x0
	.amdhsa_kernel _ZN9rocsparseL23check_matrix_csr_deviceILj256ELj4EdllEEvT3_S1_T2_PKT1_PKS2_PKS1_S9_21rocsparse_index_base_22rocsparse_matrix_type_20rocsparse_fill_mode_23rocsparse_storage_mode_P22rocsparse_data_status_
		.amdhsa_group_segment_fixed_size 0
		.amdhsa_private_segment_fixed_size 0
		.amdhsa_kernarg_size 80
		.amdhsa_user_sgpr_count 6
		.amdhsa_user_sgpr_private_segment_buffer 1
		.amdhsa_user_sgpr_dispatch_ptr 0
		.amdhsa_user_sgpr_queue_ptr 0
		.amdhsa_user_sgpr_kernarg_segment_ptr 1
		.amdhsa_user_sgpr_dispatch_id 0
		.amdhsa_user_sgpr_flat_scratch_init 0
		.amdhsa_user_sgpr_private_segment_size 0
		.amdhsa_uses_dynamic_stack 0
		.amdhsa_system_sgpr_private_segment_wavefront_offset 0
		.amdhsa_system_sgpr_workgroup_id_x 1
		.amdhsa_system_sgpr_workgroup_id_y 0
		.amdhsa_system_sgpr_workgroup_id_z 0
		.amdhsa_system_sgpr_workgroup_info 0
		.amdhsa_system_vgpr_workitem_id 0
		.amdhsa_next_free_vgpr 25
		.amdhsa_next_free_sgpr 48
		.amdhsa_reserve_vcc 1
		.amdhsa_reserve_flat_scratch 0
		.amdhsa_float_round_mode_32 0
		.amdhsa_float_round_mode_16_64 0
		.amdhsa_float_denorm_mode_32 3
		.amdhsa_float_denorm_mode_16_64 3
		.amdhsa_dx10_clamp 1
		.amdhsa_ieee_mode 1
		.amdhsa_fp16_overflow 0
		.amdhsa_exception_fp_ieee_invalid_op 0
		.amdhsa_exception_fp_denorm_src 0
		.amdhsa_exception_fp_ieee_div_zero 0
		.amdhsa_exception_fp_ieee_overflow 0
		.amdhsa_exception_fp_ieee_underflow 0
		.amdhsa_exception_fp_ieee_inexact 0
		.amdhsa_exception_int_div_zero 0
	.end_amdhsa_kernel
	.section	.text._ZN9rocsparseL23check_matrix_csr_deviceILj256ELj4EdllEEvT3_S1_T2_PKT1_PKS2_PKS1_S9_21rocsparse_index_base_22rocsparse_matrix_type_20rocsparse_fill_mode_23rocsparse_storage_mode_P22rocsparse_data_status_,"axG",@progbits,_ZN9rocsparseL23check_matrix_csr_deviceILj256ELj4EdllEEvT3_S1_T2_PKT1_PKS2_PKS1_S9_21rocsparse_index_base_22rocsparse_matrix_type_20rocsparse_fill_mode_23rocsparse_storage_mode_P22rocsparse_data_status_,comdat
.Lfunc_end69:
	.size	_ZN9rocsparseL23check_matrix_csr_deviceILj256ELj4EdllEEvT3_S1_T2_PKT1_PKS2_PKS1_S9_21rocsparse_index_base_22rocsparse_matrix_type_20rocsparse_fill_mode_23rocsparse_storage_mode_P22rocsparse_data_status_, .Lfunc_end69-_ZN9rocsparseL23check_matrix_csr_deviceILj256ELj4EdllEEvT3_S1_T2_PKT1_PKS2_PKS1_S9_21rocsparse_index_base_22rocsparse_matrix_type_20rocsparse_fill_mode_23rocsparse_storage_mode_P22rocsparse_data_status_
                                        ; -- End function
	.set _ZN9rocsparseL23check_matrix_csr_deviceILj256ELj4EdllEEvT3_S1_T2_PKT1_PKS2_PKS1_S9_21rocsparse_index_base_22rocsparse_matrix_type_20rocsparse_fill_mode_23rocsparse_storage_mode_P22rocsparse_data_status_.num_vgpr, 25
	.set _ZN9rocsparseL23check_matrix_csr_deviceILj256ELj4EdllEEvT3_S1_T2_PKT1_PKS2_PKS1_S9_21rocsparse_index_base_22rocsparse_matrix_type_20rocsparse_fill_mode_23rocsparse_storage_mode_P22rocsparse_data_status_.num_agpr, 0
	.set _ZN9rocsparseL23check_matrix_csr_deviceILj256ELj4EdllEEvT3_S1_T2_PKT1_PKS2_PKS1_S9_21rocsparse_index_base_22rocsparse_matrix_type_20rocsparse_fill_mode_23rocsparse_storage_mode_P22rocsparse_data_status_.numbered_sgpr, 48
	.set _ZN9rocsparseL23check_matrix_csr_deviceILj256ELj4EdllEEvT3_S1_T2_PKT1_PKS2_PKS1_S9_21rocsparse_index_base_22rocsparse_matrix_type_20rocsparse_fill_mode_23rocsparse_storage_mode_P22rocsparse_data_status_.num_named_barrier, 0
	.set _ZN9rocsparseL23check_matrix_csr_deviceILj256ELj4EdllEEvT3_S1_T2_PKT1_PKS2_PKS1_S9_21rocsparse_index_base_22rocsparse_matrix_type_20rocsparse_fill_mode_23rocsparse_storage_mode_P22rocsparse_data_status_.private_seg_size, 0
	.set _ZN9rocsparseL23check_matrix_csr_deviceILj256ELj4EdllEEvT3_S1_T2_PKT1_PKS2_PKS1_S9_21rocsparse_index_base_22rocsparse_matrix_type_20rocsparse_fill_mode_23rocsparse_storage_mode_P22rocsparse_data_status_.uses_vcc, 1
	.set _ZN9rocsparseL23check_matrix_csr_deviceILj256ELj4EdllEEvT3_S1_T2_PKT1_PKS2_PKS1_S9_21rocsparse_index_base_22rocsparse_matrix_type_20rocsparse_fill_mode_23rocsparse_storage_mode_P22rocsparse_data_status_.uses_flat_scratch, 0
	.set _ZN9rocsparseL23check_matrix_csr_deviceILj256ELj4EdllEEvT3_S1_T2_PKT1_PKS2_PKS1_S9_21rocsparse_index_base_22rocsparse_matrix_type_20rocsparse_fill_mode_23rocsparse_storage_mode_P22rocsparse_data_status_.has_dyn_sized_stack, 0
	.set _ZN9rocsparseL23check_matrix_csr_deviceILj256ELj4EdllEEvT3_S1_T2_PKT1_PKS2_PKS1_S9_21rocsparse_index_base_22rocsparse_matrix_type_20rocsparse_fill_mode_23rocsparse_storage_mode_P22rocsparse_data_status_.has_recursion, 0
	.set _ZN9rocsparseL23check_matrix_csr_deviceILj256ELj4EdllEEvT3_S1_T2_PKT1_PKS2_PKS1_S9_21rocsparse_index_base_22rocsparse_matrix_type_20rocsparse_fill_mode_23rocsparse_storage_mode_P22rocsparse_data_status_.has_indirect_call, 0
	.section	.AMDGPU.csdata,"",@progbits
; Kernel info:
; codeLenInByte = 928
; TotalNumSgprs: 52
; NumVgprs: 25
; ScratchSize: 0
; MemoryBound: 0
; FloatMode: 240
; IeeeMode: 1
; LDSByteSize: 0 bytes/workgroup (compile time only)
; SGPRBlocks: 6
; VGPRBlocks: 6
; NumSGPRsForWavesPerEU: 52
; NumVGPRsForWavesPerEU: 25
; Occupancy: 9
; WaveLimiterHint : 0
; COMPUTE_PGM_RSRC2:SCRATCH_EN: 0
; COMPUTE_PGM_RSRC2:USER_SGPR: 6
; COMPUTE_PGM_RSRC2:TRAP_HANDLER: 0
; COMPUTE_PGM_RSRC2:TGID_X_EN: 1
; COMPUTE_PGM_RSRC2:TGID_Y_EN: 0
; COMPUTE_PGM_RSRC2:TGID_Z_EN: 0
; COMPUTE_PGM_RSRC2:TIDIG_COMP_CNT: 0
	.section	.text._ZN9rocsparseL23check_matrix_csr_deviceILj256ELj8EdllEEvT3_S1_T2_PKT1_PKS2_PKS1_S9_21rocsparse_index_base_22rocsparse_matrix_type_20rocsparse_fill_mode_23rocsparse_storage_mode_P22rocsparse_data_status_,"axG",@progbits,_ZN9rocsparseL23check_matrix_csr_deviceILj256ELj8EdllEEvT3_S1_T2_PKT1_PKS2_PKS1_S9_21rocsparse_index_base_22rocsparse_matrix_type_20rocsparse_fill_mode_23rocsparse_storage_mode_P22rocsparse_data_status_,comdat
	.globl	_ZN9rocsparseL23check_matrix_csr_deviceILj256ELj8EdllEEvT3_S1_T2_PKT1_PKS2_PKS1_S9_21rocsparse_index_base_22rocsparse_matrix_type_20rocsparse_fill_mode_23rocsparse_storage_mode_P22rocsparse_data_status_ ; -- Begin function _ZN9rocsparseL23check_matrix_csr_deviceILj256ELj8EdllEEvT3_S1_T2_PKT1_PKS2_PKS1_S9_21rocsparse_index_base_22rocsparse_matrix_type_20rocsparse_fill_mode_23rocsparse_storage_mode_P22rocsparse_data_status_
	.p2align	8
	.type	_ZN9rocsparseL23check_matrix_csr_deviceILj256ELj8EdllEEvT3_S1_T2_PKT1_PKS2_PKS1_S9_21rocsparse_index_base_22rocsparse_matrix_type_20rocsparse_fill_mode_23rocsparse_storage_mode_P22rocsparse_data_status_,@function
_ZN9rocsparseL23check_matrix_csr_deviceILj256ELj8EdllEEvT3_S1_T2_PKT1_PKS2_PKS1_S9_21rocsparse_index_base_22rocsparse_matrix_type_20rocsparse_fill_mode_23rocsparse_storage_mode_P22rocsparse_data_status_: ; @_ZN9rocsparseL23check_matrix_csr_deviceILj256ELj8EdllEEvT3_S1_T2_PKT1_PKS2_PKS1_S9_21rocsparse_index_base_22rocsparse_matrix_type_20rocsparse_fill_mode_23rocsparse_storage_mode_P22rocsparse_data_status_
; %bb.0:
	s_load_dwordx4 s[16:19], s[4:5], 0x0
	v_lshl_or_b32 v1, s6, 8, v0
	v_lshrrev_b32_e32 v1, 3, v1
	v_mov_b32_e32 v2, 0
	s_waitcnt lgkmcnt(0)
	v_cmp_gt_i64_e32 vcc, s[16:17], v[1:2]
	s_and_saveexec_b64 s[0:1], vcc
	s_cbranch_execz .LBB70_31
; %bb.1:
	s_load_dwordx2 s[0:1], s[4:5], 0x20
	v_lshlrev_b32_e32 v3, 3, v1
	v_mov_b32_e32 v21, 3
	s_mov_b64 s[10:11], -1
	s_mov_b64 s[8:9], 0
	s_waitcnt lgkmcnt(0)
	global_load_dwordx4 v[7:10], v3, s[0:1]
	s_load_dwordx2 s[0:1], s[0:1], 0x0
	s_waitcnt lgkmcnt(0)
	v_mov_b32_e32 v6, s1
	s_waitcnt vmcnt(0)
	v_subrev_co_u32_e32 v3, vcc, s0, v7
	v_subb_co_u32_e32 v4, vcc, v8, v6, vcc
	v_subrev_co_u32_e32 v5, vcc, s0, v9
	v_subb_co_u32_e32 v6, vcc, v10, v6, vcc
	v_cmp_gt_i64_e64 s[0:1], 0, v[5:6]
	v_cmp_lt_i64_e64 s[2:3], v[9:10], v[7:8]
	v_cmp_lt_i64_e32 vcc, -1, v[3:4]
	s_or_b64 s[0:1], s[0:1], s[2:3]
	s_xor_b64 s[0:1], s[0:1], -1
	s_and_b64 s[0:1], vcc, s[0:1]
	s_and_saveexec_b64 s[6:7], s[0:1]
	s_cbranch_execz .LBB70_29
; %bb.2:
	v_and_b32_e32 v0, 7, v0
	v_add_co_u32_e32 v7, vcc, v3, v0
	v_addc_co_u32_e32 v8, vcc, 0, v4, vcc
	v_cmp_lt_u64_e32 vcc, v[7:8], v[5:6]
	v_mov_b32_e32 v21, 3
	s_and_saveexec_b64 s[16:17], vcc
	s_cbranch_execz .LBB70_28
; %bb.3:
	s_load_dwordx8 s[8:15], s[4:5], 0x28
	s_load_dwordx2 s[0:1], s[4:5], 0x18
	v_lshlrev_b64 v[13:14], 3, v[7:8]
                                        ; implicit-def: $sgpr24_sgpr25
                                        ; implicit-def: $sgpr26_sgpr27
                                        ; implicit-def: $sgpr28_sgpr29
	s_waitcnt lgkmcnt(0)
	v_mov_b32_e32 v0, s11
	v_add_co_u32_e32 v9, vcc, s10, v13
	v_addc_co_u32_e32 v0, vcc, v0, v14, vcc
	v_add_co_u32_e32 v9, vcc, -8, v9
	v_addc_co_u32_e32 v10, vcc, -1, v0, vcc
	s_cmp_lg_u32 s13, 0
	v_mov_b32_e32 v0, s1
	v_add_co_u32_e32 v11, vcc, s0, v13
	s_cselect_b64 s[20:21], -1, 0
	s_cmp_lg_u32 s14, 0
	v_addc_co_u32_e32 v12, vcc, v0, v14, vcc
	s_cselect_b64 s[22:23], -1, 0
	s_cmp_lg_u32 s15, 0
	v_mov_b32_e32 v0, s9
	v_add_co_u32_e32 v13, vcc, s8, v13
	s_mov_b32 s10, 0
	s_cselect_b64 s[14:15], -1, 0
	v_addc_co_u32_e32 v14, vcc, v0, v14, vcc
	s_mov_b32 s11, 0x7ff00000
	s_mov_b64 s[8:9], 0
	s_branch .LBB70_10
.LBB70_4:                               ;   in Loop: Header=BB70_10 Depth=1
	s_or_b64 exec, exec, s[0:1]
	s_orn2_b64 s[44:45], s[2:3], exec
	s_orn2_b64 s[0:1], s[40:41], exec
.LBB70_5:                               ;   in Loop: Header=BB70_10 Depth=1
	s_or_b64 exec, exec, s[42:43]
	s_orn2_b64 s[2:3], s[44:45], exec
	s_orn2_b64 s[0:1], s[0:1], exec
.LBB70_6:                               ;   in Loop: Header=BB70_10 Depth=1
	s_or_b64 exec, exec, s[38:39]
	s_orn2_b64 s[2:3], s[2:3], exec
	s_orn2_b64 s[0:1], s[0:1], exec
.LBB70_7:                               ;   in Loop: Header=BB70_10 Depth=1
	s_or_b64 exec, exec, s[36:37]
	s_orn2_b64 s[2:3], s[2:3], exec
	s_orn2_b64 s[0:1], s[0:1], exec
.LBB70_8:                               ;   in Loop: Header=BB70_10 Depth=1
	s_or_b64 exec, exec, s[34:35]
	s_andn2_b64 s[28:29], s[28:29], exec
	s_and_b64 s[2:3], s[2:3], exec
	s_or_b64 s[28:29], s[28:29], s[2:3]
	s_andn2_b64 s[2:3], s[26:27], exec
	s_and_b64 s[0:1], s[0:1], exec
	s_or_b64 s[26:27], s[2:3], s[0:1]
.LBB70_9:                               ;   in Loop: Header=BB70_10 Depth=1
	s_or_b64 exec, exec, s[30:31]
	s_and_b64 s[0:1], exec, s[26:27]
	s_or_b64 s[8:9], s[0:1], s[8:9]
	s_andn2_b64 s[0:1], s[24:25], exec
	s_and_b64 s[2:3], s[28:29], exec
	s_or_b64 s[24:25], s[0:1], s[2:3]
	s_andn2_b64 exec, exec, s[8:9]
	s_cbranch_execz .LBB70_27
.LBB70_10:                              ; =>This Inner Loop Header: Depth=1
	global_load_dwordx2 v[15:16], v[13:14], off
	v_mov_b32_e32 v21, 4
	s_or_b64 s[28:29], s[28:29], exec
	s_or_b64 s[26:27], s[26:27], exec
	s_waitcnt vmcnt(0)
	v_subrev_co_u32_e32 v17, vcc, s12, v15
	v_subbrev_co_u32_e32 v18, vcc, 0, v16, vcc
	v_cmp_lt_i64_e32 vcc, -1, v[17:18]
	v_cmp_gt_i64_e64 s[0:1], s[18:19], v[17:18]
	s_and_b64 s[0:1], vcc, s[0:1]
	s_and_saveexec_b64 s[30:31], s[0:1]
	s_cbranch_execz .LBB70_9
; %bb.11:                               ;   in Loop: Header=BB70_10 Depth=1
	v_cmp_le_i64_e64 s[40:41], v[7:8], v[3:4]
	v_cmp_gt_i64_e32 vcc, v[7:8], v[3:4]
	v_mov_b32_e32 v21, 4
	s_mov_b64 s[36:37], s[40:41]
	s_and_saveexec_b64 s[34:35], vcc
	s_cbranch_execz .LBB70_13
; %bb.12:                               ;   in Loop: Header=BB70_10 Depth=1
	global_load_dwordx4 v[19:22], v[9:10], off
	s_waitcnt vmcnt(0)
	v_subrev_co_u32_e32 v23, vcc, s12, v19
	v_subbrev_co_u32_e32 v24, vcc, 0, v20, vcc
	v_cmp_lt_i64_e64 s[0:1], -1, v[23:24]
	v_cmp_gt_i64_e64 s[2:3], s[18:19], v[23:24]
	v_cmp_ne_u64_e32 vcc, v[21:22], v[19:20]
	s_and_b64 s[0:1], s[0:1], s[2:3]
	s_xor_b64 s[0:1], s[0:1], -1
	s_or_b64 s[0:1], vcc, s[0:1]
	s_andn2_b64 s[2:3], s[40:41], exec
	s_and_b64 s[0:1], s[0:1], exec
	v_mov_b32_e32 v21, 5
	s_or_b64 s[36:37], s[2:3], s[0:1]
.LBB70_13:                              ;   in Loop: Header=BB70_10 Depth=1
	s_or_b64 exec, exec, s[34:35]
	s_mov_b64 s[0:1], -1
	s_mov_b64 s[2:3], -1
	s_and_saveexec_b64 s[34:35], s[36:37]
	s_cbranch_execz .LBB70_8
; %bb.14:                               ;   in Loop: Header=BB70_10 Depth=1
	global_load_dwordx2 v[19:20], v[11:12], off
	v_mov_b32_e32 v21, 1
	s_waitcnt vmcnt(0)
	v_cmp_neq_f64_e32 vcc, s[10:11], v[19:20]
	s_and_saveexec_b64 s[36:37], vcc
	s_cbranch_execz .LBB70_7
; %bb.15:                               ;   in Loop: Header=BB70_10 Depth=1
	v_cmp_o_f64_e32 vcc, v[19:20], v[19:20]
	v_mov_b32_e32 v21, 2
	s_and_saveexec_b64 s[38:39], vcc
	s_cbranch_execz .LBB70_6
; %bb.16:                               ;   in Loop: Header=BB70_10 Depth=1
	s_and_b64 vcc, exec, s[20:21]
	s_cbranch_vccz .LBB70_19
; %bb.17:                               ;   in Loop: Header=BB70_10 Depth=1
	s_and_b64 vcc, exec, s[22:23]
	s_cbranch_vccz .LBB70_20
; %bb.18:                               ;   in Loop: Header=BB70_10 Depth=1
	v_cmp_ge_i64_e32 vcc, v[17:18], v[1:2]
	s_mov_b32 s13, 7
	s_and_b64 s[2:3], vcc, exec
	s_cbranch_execz .LBB70_21
	s_branch .LBB70_22
.LBB70_19:                              ;   in Loop: Header=BB70_10 Depth=1
	s_mov_b32 s13, 2
	s_branch .LBB70_22
.LBB70_20:                              ;   in Loop: Header=BB70_10 Depth=1
	s_mov_b64 s[2:3], 0
	s_mov_b32 s13, 2
.LBB70_21:                              ;   in Loop: Header=BB70_10 Depth=1
	v_cmp_le_i64_e32 vcc, v[17:18], v[1:2]
	s_andn2_b64 s[2:3], s[2:3], exec
	s_and_b64 s[42:43], vcc, exec
	s_mov_b32 s13, 7
	s_or_b64 s[2:3], s[2:3], s[42:43]
.LBB70_22:                              ;   in Loop: Header=BB70_10 Depth=1
	v_mov_b32_e32 v21, s13
	s_mov_b64 s[44:45], -1
	s_and_saveexec_b64 s[42:43], s[2:3]
	s_cbranch_execz .LBB70_5
; %bb.23:                               ;   in Loop: Header=BB70_10 Depth=1
	s_nor_b64 s[0:1], s[14:15], s[40:41]
	s_mov_b64 s[40:41], -1
	v_mov_b32_e32 v21, s13
	s_mov_b64 s[46:47], -1
	s_and_saveexec_b64 s[44:45], s[0:1]
	s_cbranch_execz .LBB70_25
; %bb.24:                               ;   in Loop: Header=BB70_10 Depth=1
	global_load_dwordx2 v[17:18], v[13:14], off offset:-8
	v_mov_b32_e32 v21, 6
	s_waitcnt vmcnt(0)
	v_subrev_co_u32_e32 v19, vcc, s12, v17
	v_subbrev_co_u32_e32 v20, vcc, 0, v18, vcc
	v_cmp_lt_i64_e32 vcc, -1, v[19:20]
	v_cmp_gt_i64_e64 s[0:1], s[18:19], v[19:20]
	v_cmp_gt_i64_e64 s[2:3], v[15:16], v[17:18]
	s_and_b64 s[0:1], vcc, s[0:1]
	s_xor_b64 s[0:1], s[0:1], -1
	s_or_b64 s[0:1], s[2:3], s[0:1]
	s_orn2_b64 s[46:47], s[0:1], exec
.LBB70_25:                              ;   in Loop: Header=BB70_10 Depth=1
	s_or_b64 exec, exec, s[44:45]
	s_mov_b64 s[2:3], -1
	s_and_saveexec_b64 s[0:1], s[46:47]
	s_cbranch_execz .LBB70_4
; %bb.26:                               ;   in Loop: Header=BB70_10 Depth=1
	v_add_co_u32_e32 v7, vcc, 8, v7
	v_addc_co_u32_e32 v8, vcc, 0, v8, vcc
	v_add_co_u32_e32 v9, vcc, 64, v9
	v_addc_co_u32_e32 v10, vcc, 0, v10, vcc
	v_add_co_u32_e32 v11, vcc, 64, v11
	v_addc_co_u32_e32 v12, vcc, 0, v12, vcc
	v_add_co_u32_e32 v13, vcc, 64, v13
	v_addc_co_u32_e32 v14, vcc, 0, v14, vcc
	v_cmp_ge_i64_e32 vcc, v[7:8], v[5:6]
	s_xor_b64 s[2:3], exec, -1
	s_orn2_b64 s[40:41], vcc, exec
	s_branch .LBB70_4
.LBB70_27:
	s_or_b64 exec, exec, s[8:9]
	s_and_b64 s[8:9], s[24:25], exec
.LBB70_28:
	s_or_b64 exec, exec, s[16:17]
	s_orn2_b64 s[10:11], s[8:9], exec
.LBB70_29:
	s_or_b64 exec, exec, s[6:7]
	s_and_b64 exec, exec, s[10:11]
	s_cbranch_execz .LBB70_31
; %bb.30:
	s_load_dwordx2 s[0:1], s[4:5], 0x48
	v_mov_b32_e32 v0, 0
	s_waitcnt lgkmcnt(0)
	global_store_dword v0, v21, s[0:1]
.LBB70_31:
	s_endpgm
	.section	.rodata,"a",@progbits
	.p2align	6, 0x0
	.amdhsa_kernel _ZN9rocsparseL23check_matrix_csr_deviceILj256ELj8EdllEEvT3_S1_T2_PKT1_PKS2_PKS1_S9_21rocsparse_index_base_22rocsparse_matrix_type_20rocsparse_fill_mode_23rocsparse_storage_mode_P22rocsparse_data_status_
		.amdhsa_group_segment_fixed_size 0
		.amdhsa_private_segment_fixed_size 0
		.amdhsa_kernarg_size 80
		.amdhsa_user_sgpr_count 6
		.amdhsa_user_sgpr_private_segment_buffer 1
		.amdhsa_user_sgpr_dispatch_ptr 0
		.amdhsa_user_sgpr_queue_ptr 0
		.amdhsa_user_sgpr_kernarg_segment_ptr 1
		.amdhsa_user_sgpr_dispatch_id 0
		.amdhsa_user_sgpr_flat_scratch_init 0
		.amdhsa_user_sgpr_private_segment_size 0
		.amdhsa_uses_dynamic_stack 0
		.amdhsa_system_sgpr_private_segment_wavefront_offset 0
		.amdhsa_system_sgpr_workgroup_id_x 1
		.amdhsa_system_sgpr_workgroup_id_y 0
		.amdhsa_system_sgpr_workgroup_id_z 0
		.amdhsa_system_sgpr_workgroup_info 0
		.amdhsa_system_vgpr_workitem_id 0
		.amdhsa_next_free_vgpr 25
		.amdhsa_next_free_sgpr 48
		.amdhsa_reserve_vcc 1
		.amdhsa_reserve_flat_scratch 0
		.amdhsa_float_round_mode_32 0
		.amdhsa_float_round_mode_16_64 0
		.amdhsa_float_denorm_mode_32 3
		.amdhsa_float_denorm_mode_16_64 3
		.amdhsa_dx10_clamp 1
		.amdhsa_ieee_mode 1
		.amdhsa_fp16_overflow 0
		.amdhsa_exception_fp_ieee_invalid_op 0
		.amdhsa_exception_fp_denorm_src 0
		.amdhsa_exception_fp_ieee_div_zero 0
		.amdhsa_exception_fp_ieee_overflow 0
		.amdhsa_exception_fp_ieee_underflow 0
		.amdhsa_exception_fp_ieee_inexact 0
		.amdhsa_exception_int_div_zero 0
	.end_amdhsa_kernel
	.section	.text._ZN9rocsparseL23check_matrix_csr_deviceILj256ELj8EdllEEvT3_S1_T2_PKT1_PKS2_PKS1_S9_21rocsparse_index_base_22rocsparse_matrix_type_20rocsparse_fill_mode_23rocsparse_storage_mode_P22rocsparse_data_status_,"axG",@progbits,_ZN9rocsparseL23check_matrix_csr_deviceILj256ELj8EdllEEvT3_S1_T2_PKT1_PKS2_PKS1_S9_21rocsparse_index_base_22rocsparse_matrix_type_20rocsparse_fill_mode_23rocsparse_storage_mode_P22rocsparse_data_status_,comdat
.Lfunc_end70:
	.size	_ZN9rocsparseL23check_matrix_csr_deviceILj256ELj8EdllEEvT3_S1_T2_PKT1_PKS2_PKS1_S9_21rocsparse_index_base_22rocsparse_matrix_type_20rocsparse_fill_mode_23rocsparse_storage_mode_P22rocsparse_data_status_, .Lfunc_end70-_ZN9rocsparseL23check_matrix_csr_deviceILj256ELj8EdllEEvT3_S1_T2_PKT1_PKS2_PKS1_S9_21rocsparse_index_base_22rocsparse_matrix_type_20rocsparse_fill_mode_23rocsparse_storage_mode_P22rocsparse_data_status_
                                        ; -- End function
	.set _ZN9rocsparseL23check_matrix_csr_deviceILj256ELj8EdllEEvT3_S1_T2_PKT1_PKS2_PKS1_S9_21rocsparse_index_base_22rocsparse_matrix_type_20rocsparse_fill_mode_23rocsparse_storage_mode_P22rocsparse_data_status_.num_vgpr, 25
	.set _ZN9rocsparseL23check_matrix_csr_deviceILj256ELj8EdllEEvT3_S1_T2_PKT1_PKS2_PKS1_S9_21rocsparse_index_base_22rocsparse_matrix_type_20rocsparse_fill_mode_23rocsparse_storage_mode_P22rocsparse_data_status_.num_agpr, 0
	.set _ZN9rocsparseL23check_matrix_csr_deviceILj256ELj8EdllEEvT3_S1_T2_PKT1_PKS2_PKS1_S9_21rocsparse_index_base_22rocsparse_matrix_type_20rocsparse_fill_mode_23rocsparse_storage_mode_P22rocsparse_data_status_.numbered_sgpr, 48
	.set _ZN9rocsparseL23check_matrix_csr_deviceILj256ELj8EdllEEvT3_S1_T2_PKT1_PKS2_PKS1_S9_21rocsparse_index_base_22rocsparse_matrix_type_20rocsparse_fill_mode_23rocsparse_storage_mode_P22rocsparse_data_status_.num_named_barrier, 0
	.set _ZN9rocsparseL23check_matrix_csr_deviceILj256ELj8EdllEEvT3_S1_T2_PKT1_PKS2_PKS1_S9_21rocsparse_index_base_22rocsparse_matrix_type_20rocsparse_fill_mode_23rocsparse_storage_mode_P22rocsparse_data_status_.private_seg_size, 0
	.set _ZN9rocsparseL23check_matrix_csr_deviceILj256ELj8EdllEEvT3_S1_T2_PKT1_PKS2_PKS1_S9_21rocsparse_index_base_22rocsparse_matrix_type_20rocsparse_fill_mode_23rocsparse_storage_mode_P22rocsparse_data_status_.uses_vcc, 1
	.set _ZN9rocsparseL23check_matrix_csr_deviceILj256ELj8EdllEEvT3_S1_T2_PKT1_PKS2_PKS1_S9_21rocsparse_index_base_22rocsparse_matrix_type_20rocsparse_fill_mode_23rocsparse_storage_mode_P22rocsparse_data_status_.uses_flat_scratch, 0
	.set _ZN9rocsparseL23check_matrix_csr_deviceILj256ELj8EdllEEvT3_S1_T2_PKT1_PKS2_PKS1_S9_21rocsparse_index_base_22rocsparse_matrix_type_20rocsparse_fill_mode_23rocsparse_storage_mode_P22rocsparse_data_status_.has_dyn_sized_stack, 0
	.set _ZN9rocsparseL23check_matrix_csr_deviceILj256ELj8EdllEEvT3_S1_T2_PKT1_PKS2_PKS1_S9_21rocsparse_index_base_22rocsparse_matrix_type_20rocsparse_fill_mode_23rocsparse_storage_mode_P22rocsparse_data_status_.has_recursion, 0
	.set _ZN9rocsparseL23check_matrix_csr_deviceILj256ELj8EdllEEvT3_S1_T2_PKT1_PKS2_PKS1_S9_21rocsparse_index_base_22rocsparse_matrix_type_20rocsparse_fill_mode_23rocsparse_storage_mode_P22rocsparse_data_status_.has_indirect_call, 0
	.section	.AMDGPU.csdata,"",@progbits
; Kernel info:
; codeLenInByte = 912
; TotalNumSgprs: 52
; NumVgprs: 25
; ScratchSize: 0
; MemoryBound: 0
; FloatMode: 240
; IeeeMode: 1
; LDSByteSize: 0 bytes/workgroup (compile time only)
; SGPRBlocks: 6
; VGPRBlocks: 6
; NumSGPRsForWavesPerEU: 52
; NumVGPRsForWavesPerEU: 25
; Occupancy: 9
; WaveLimiterHint : 0
; COMPUTE_PGM_RSRC2:SCRATCH_EN: 0
; COMPUTE_PGM_RSRC2:USER_SGPR: 6
; COMPUTE_PGM_RSRC2:TRAP_HANDLER: 0
; COMPUTE_PGM_RSRC2:TGID_X_EN: 1
; COMPUTE_PGM_RSRC2:TGID_Y_EN: 0
; COMPUTE_PGM_RSRC2:TGID_Z_EN: 0
; COMPUTE_PGM_RSRC2:TIDIG_COMP_CNT: 0
	.section	.text._ZN9rocsparseL23check_matrix_csr_deviceILj256ELj16EdllEEvT3_S1_T2_PKT1_PKS2_PKS1_S9_21rocsparse_index_base_22rocsparse_matrix_type_20rocsparse_fill_mode_23rocsparse_storage_mode_P22rocsparse_data_status_,"axG",@progbits,_ZN9rocsparseL23check_matrix_csr_deviceILj256ELj16EdllEEvT3_S1_T2_PKT1_PKS2_PKS1_S9_21rocsparse_index_base_22rocsparse_matrix_type_20rocsparse_fill_mode_23rocsparse_storage_mode_P22rocsparse_data_status_,comdat
	.globl	_ZN9rocsparseL23check_matrix_csr_deviceILj256ELj16EdllEEvT3_S1_T2_PKT1_PKS2_PKS1_S9_21rocsparse_index_base_22rocsparse_matrix_type_20rocsparse_fill_mode_23rocsparse_storage_mode_P22rocsparse_data_status_ ; -- Begin function _ZN9rocsparseL23check_matrix_csr_deviceILj256ELj16EdllEEvT3_S1_T2_PKT1_PKS2_PKS1_S9_21rocsparse_index_base_22rocsparse_matrix_type_20rocsparse_fill_mode_23rocsparse_storage_mode_P22rocsparse_data_status_
	.p2align	8
	.type	_ZN9rocsparseL23check_matrix_csr_deviceILj256ELj16EdllEEvT3_S1_T2_PKT1_PKS2_PKS1_S9_21rocsparse_index_base_22rocsparse_matrix_type_20rocsparse_fill_mode_23rocsparse_storage_mode_P22rocsparse_data_status_,@function
_ZN9rocsparseL23check_matrix_csr_deviceILj256ELj16EdllEEvT3_S1_T2_PKT1_PKS2_PKS1_S9_21rocsparse_index_base_22rocsparse_matrix_type_20rocsparse_fill_mode_23rocsparse_storage_mode_P22rocsparse_data_status_: ; @_ZN9rocsparseL23check_matrix_csr_deviceILj256ELj16EdllEEvT3_S1_T2_PKT1_PKS2_PKS1_S9_21rocsparse_index_base_22rocsparse_matrix_type_20rocsparse_fill_mode_23rocsparse_storage_mode_P22rocsparse_data_status_
; %bb.0:
	s_load_dwordx4 s[16:19], s[4:5], 0x0
	v_lshl_or_b32 v1, s6, 8, v0
	v_lshrrev_b32_e32 v1, 4, v1
	v_mov_b32_e32 v2, 0
	s_waitcnt lgkmcnt(0)
	v_cmp_gt_i64_e32 vcc, s[16:17], v[1:2]
	s_and_saveexec_b64 s[0:1], vcc
	s_cbranch_execz .LBB71_31
; %bb.1:
	s_load_dwordx2 s[0:1], s[4:5], 0x20
	v_lshlrev_b32_e32 v3, 3, v1
	v_mov_b32_e32 v21, 3
	s_mov_b64 s[10:11], -1
	s_mov_b64 s[8:9], 0
	s_waitcnt lgkmcnt(0)
	global_load_dwordx4 v[7:10], v3, s[0:1]
	s_load_dwordx2 s[0:1], s[0:1], 0x0
	s_waitcnt lgkmcnt(0)
	v_mov_b32_e32 v6, s1
	s_waitcnt vmcnt(0)
	v_subrev_co_u32_e32 v3, vcc, s0, v7
	v_subb_co_u32_e32 v4, vcc, v8, v6, vcc
	v_subrev_co_u32_e32 v5, vcc, s0, v9
	v_subb_co_u32_e32 v6, vcc, v10, v6, vcc
	v_cmp_gt_i64_e64 s[0:1], 0, v[5:6]
	v_cmp_lt_i64_e64 s[2:3], v[9:10], v[7:8]
	v_cmp_lt_i64_e32 vcc, -1, v[3:4]
	s_or_b64 s[0:1], s[0:1], s[2:3]
	s_xor_b64 s[0:1], s[0:1], -1
	s_and_b64 s[0:1], vcc, s[0:1]
	s_and_saveexec_b64 s[6:7], s[0:1]
	s_cbranch_execz .LBB71_29
; %bb.2:
	v_and_b32_e32 v0, 15, v0
	v_add_co_u32_e32 v7, vcc, v3, v0
	v_addc_co_u32_e32 v8, vcc, 0, v4, vcc
	v_cmp_lt_u64_e32 vcc, v[7:8], v[5:6]
	v_mov_b32_e32 v21, 3
	s_and_saveexec_b64 s[16:17], vcc
	s_cbranch_execz .LBB71_28
; %bb.3:
	s_load_dwordx8 s[8:15], s[4:5], 0x28
	s_load_dwordx2 s[0:1], s[4:5], 0x18
	v_lshlrev_b64 v[13:14], 3, v[7:8]
                                        ; implicit-def: $sgpr24_sgpr25
                                        ; implicit-def: $sgpr26_sgpr27
                                        ; implicit-def: $sgpr28_sgpr29
	s_waitcnt lgkmcnt(0)
	v_mov_b32_e32 v0, s11
	v_add_co_u32_e32 v9, vcc, s10, v13
	v_addc_co_u32_e32 v0, vcc, v0, v14, vcc
	v_add_co_u32_e32 v9, vcc, -8, v9
	v_addc_co_u32_e32 v10, vcc, -1, v0, vcc
	s_cmp_lg_u32 s13, 0
	v_mov_b32_e32 v0, s1
	v_add_co_u32_e32 v11, vcc, s0, v13
	s_cselect_b64 s[20:21], -1, 0
	s_cmp_lg_u32 s14, 0
	v_addc_co_u32_e32 v12, vcc, v0, v14, vcc
	s_cselect_b64 s[22:23], -1, 0
	s_cmp_lg_u32 s15, 0
	v_mov_b32_e32 v0, s9
	v_add_co_u32_e32 v13, vcc, s8, v13
	s_mov_b32 s10, 0
	s_cselect_b64 s[14:15], -1, 0
	v_addc_co_u32_e32 v14, vcc, v0, v14, vcc
	s_mov_b32 s11, 0x7ff00000
	s_mov_b64 s[8:9], 0
	s_branch .LBB71_10
.LBB71_4:                               ;   in Loop: Header=BB71_10 Depth=1
	s_or_b64 exec, exec, s[0:1]
	s_orn2_b64 s[44:45], s[2:3], exec
	s_orn2_b64 s[0:1], s[40:41], exec
.LBB71_5:                               ;   in Loop: Header=BB71_10 Depth=1
	s_or_b64 exec, exec, s[42:43]
	s_orn2_b64 s[2:3], s[44:45], exec
	s_orn2_b64 s[0:1], s[0:1], exec
.LBB71_6:                               ;   in Loop: Header=BB71_10 Depth=1
	s_or_b64 exec, exec, s[38:39]
	s_orn2_b64 s[2:3], s[2:3], exec
	s_orn2_b64 s[0:1], s[0:1], exec
.LBB71_7:                               ;   in Loop: Header=BB71_10 Depth=1
	s_or_b64 exec, exec, s[36:37]
	s_orn2_b64 s[2:3], s[2:3], exec
	s_orn2_b64 s[0:1], s[0:1], exec
.LBB71_8:                               ;   in Loop: Header=BB71_10 Depth=1
	s_or_b64 exec, exec, s[34:35]
	s_andn2_b64 s[28:29], s[28:29], exec
	s_and_b64 s[2:3], s[2:3], exec
	s_or_b64 s[28:29], s[28:29], s[2:3]
	s_andn2_b64 s[2:3], s[26:27], exec
	s_and_b64 s[0:1], s[0:1], exec
	s_or_b64 s[26:27], s[2:3], s[0:1]
.LBB71_9:                               ;   in Loop: Header=BB71_10 Depth=1
	s_or_b64 exec, exec, s[30:31]
	s_and_b64 s[0:1], exec, s[26:27]
	s_or_b64 s[8:9], s[0:1], s[8:9]
	s_andn2_b64 s[0:1], s[24:25], exec
	s_and_b64 s[2:3], s[28:29], exec
	s_or_b64 s[24:25], s[0:1], s[2:3]
	s_andn2_b64 exec, exec, s[8:9]
	s_cbranch_execz .LBB71_27
.LBB71_10:                              ; =>This Inner Loop Header: Depth=1
	global_load_dwordx2 v[15:16], v[13:14], off
	v_mov_b32_e32 v21, 4
	s_or_b64 s[28:29], s[28:29], exec
	s_or_b64 s[26:27], s[26:27], exec
	s_waitcnt vmcnt(0)
	v_subrev_co_u32_e32 v17, vcc, s12, v15
	v_subbrev_co_u32_e32 v18, vcc, 0, v16, vcc
	v_cmp_lt_i64_e32 vcc, -1, v[17:18]
	v_cmp_gt_i64_e64 s[0:1], s[18:19], v[17:18]
	s_and_b64 s[0:1], vcc, s[0:1]
	s_and_saveexec_b64 s[30:31], s[0:1]
	s_cbranch_execz .LBB71_9
; %bb.11:                               ;   in Loop: Header=BB71_10 Depth=1
	v_cmp_le_i64_e64 s[40:41], v[7:8], v[3:4]
	v_cmp_gt_i64_e32 vcc, v[7:8], v[3:4]
	v_mov_b32_e32 v21, 4
	s_mov_b64 s[36:37], s[40:41]
	s_and_saveexec_b64 s[34:35], vcc
	s_cbranch_execz .LBB71_13
; %bb.12:                               ;   in Loop: Header=BB71_10 Depth=1
	global_load_dwordx4 v[19:22], v[9:10], off
	s_waitcnt vmcnt(0)
	v_subrev_co_u32_e32 v23, vcc, s12, v19
	v_subbrev_co_u32_e32 v24, vcc, 0, v20, vcc
	v_cmp_lt_i64_e64 s[0:1], -1, v[23:24]
	v_cmp_gt_i64_e64 s[2:3], s[18:19], v[23:24]
	v_cmp_ne_u64_e32 vcc, v[21:22], v[19:20]
	s_and_b64 s[0:1], s[0:1], s[2:3]
	s_xor_b64 s[0:1], s[0:1], -1
	s_or_b64 s[0:1], vcc, s[0:1]
	s_andn2_b64 s[2:3], s[40:41], exec
	s_and_b64 s[0:1], s[0:1], exec
	v_mov_b32_e32 v21, 5
	s_or_b64 s[36:37], s[2:3], s[0:1]
.LBB71_13:                              ;   in Loop: Header=BB71_10 Depth=1
	s_or_b64 exec, exec, s[34:35]
	s_mov_b64 s[0:1], -1
	s_mov_b64 s[2:3], -1
	s_and_saveexec_b64 s[34:35], s[36:37]
	s_cbranch_execz .LBB71_8
; %bb.14:                               ;   in Loop: Header=BB71_10 Depth=1
	global_load_dwordx2 v[19:20], v[11:12], off
	v_mov_b32_e32 v21, 1
	s_waitcnt vmcnt(0)
	v_cmp_neq_f64_e32 vcc, s[10:11], v[19:20]
	s_and_saveexec_b64 s[36:37], vcc
	s_cbranch_execz .LBB71_7
; %bb.15:                               ;   in Loop: Header=BB71_10 Depth=1
	v_cmp_o_f64_e32 vcc, v[19:20], v[19:20]
	v_mov_b32_e32 v21, 2
	s_and_saveexec_b64 s[38:39], vcc
	s_cbranch_execz .LBB71_6
; %bb.16:                               ;   in Loop: Header=BB71_10 Depth=1
	s_and_b64 vcc, exec, s[20:21]
	s_cbranch_vccz .LBB71_19
; %bb.17:                               ;   in Loop: Header=BB71_10 Depth=1
	s_and_b64 vcc, exec, s[22:23]
	s_cbranch_vccz .LBB71_20
; %bb.18:                               ;   in Loop: Header=BB71_10 Depth=1
	v_cmp_ge_i64_e32 vcc, v[17:18], v[1:2]
	s_mov_b32 s13, 7
	s_and_b64 s[2:3], vcc, exec
	s_cbranch_execz .LBB71_21
	s_branch .LBB71_22
.LBB71_19:                              ;   in Loop: Header=BB71_10 Depth=1
	s_mov_b32 s13, 2
	s_branch .LBB71_22
.LBB71_20:                              ;   in Loop: Header=BB71_10 Depth=1
	s_mov_b64 s[2:3], 0
	s_mov_b32 s13, 2
.LBB71_21:                              ;   in Loop: Header=BB71_10 Depth=1
	v_cmp_le_i64_e32 vcc, v[17:18], v[1:2]
	s_andn2_b64 s[2:3], s[2:3], exec
	s_and_b64 s[42:43], vcc, exec
	s_mov_b32 s13, 7
	s_or_b64 s[2:3], s[2:3], s[42:43]
.LBB71_22:                              ;   in Loop: Header=BB71_10 Depth=1
	v_mov_b32_e32 v21, s13
	s_mov_b64 s[44:45], -1
	s_and_saveexec_b64 s[42:43], s[2:3]
	s_cbranch_execz .LBB71_5
; %bb.23:                               ;   in Loop: Header=BB71_10 Depth=1
	s_nor_b64 s[0:1], s[14:15], s[40:41]
	s_mov_b64 s[40:41], -1
	v_mov_b32_e32 v21, s13
	s_mov_b64 s[46:47], -1
	s_and_saveexec_b64 s[44:45], s[0:1]
	s_cbranch_execz .LBB71_25
; %bb.24:                               ;   in Loop: Header=BB71_10 Depth=1
	global_load_dwordx2 v[17:18], v[13:14], off offset:-8
	v_mov_b32_e32 v21, 6
	s_waitcnt vmcnt(0)
	v_subrev_co_u32_e32 v19, vcc, s12, v17
	v_subbrev_co_u32_e32 v20, vcc, 0, v18, vcc
	v_cmp_lt_i64_e32 vcc, -1, v[19:20]
	v_cmp_gt_i64_e64 s[0:1], s[18:19], v[19:20]
	v_cmp_gt_i64_e64 s[2:3], v[15:16], v[17:18]
	s_and_b64 s[0:1], vcc, s[0:1]
	s_xor_b64 s[0:1], s[0:1], -1
	s_or_b64 s[0:1], s[2:3], s[0:1]
	s_orn2_b64 s[46:47], s[0:1], exec
.LBB71_25:                              ;   in Loop: Header=BB71_10 Depth=1
	s_or_b64 exec, exec, s[44:45]
	s_mov_b64 s[2:3], -1
	s_and_saveexec_b64 s[0:1], s[46:47]
	s_cbranch_execz .LBB71_4
; %bb.26:                               ;   in Loop: Header=BB71_10 Depth=1
	v_add_co_u32_e32 v7, vcc, 16, v7
	v_addc_co_u32_e32 v8, vcc, 0, v8, vcc
	v_add_co_u32_e32 v9, vcc, 0x80, v9
	v_addc_co_u32_e32 v10, vcc, 0, v10, vcc
	;; [unrolled: 2-line block ×4, first 2 shown]
	v_cmp_ge_i64_e32 vcc, v[7:8], v[5:6]
	s_xor_b64 s[2:3], exec, -1
	s_orn2_b64 s[40:41], vcc, exec
	s_branch .LBB71_4
.LBB71_27:
	s_or_b64 exec, exec, s[8:9]
	s_and_b64 s[8:9], s[24:25], exec
.LBB71_28:
	s_or_b64 exec, exec, s[16:17]
	s_orn2_b64 s[10:11], s[8:9], exec
.LBB71_29:
	s_or_b64 exec, exec, s[6:7]
	s_and_b64 exec, exec, s[10:11]
	s_cbranch_execz .LBB71_31
; %bb.30:
	s_load_dwordx2 s[0:1], s[4:5], 0x48
	v_mov_b32_e32 v0, 0
	s_waitcnt lgkmcnt(0)
	global_store_dword v0, v21, s[0:1]
.LBB71_31:
	s_endpgm
	.section	.rodata,"a",@progbits
	.p2align	6, 0x0
	.amdhsa_kernel _ZN9rocsparseL23check_matrix_csr_deviceILj256ELj16EdllEEvT3_S1_T2_PKT1_PKS2_PKS1_S9_21rocsparse_index_base_22rocsparse_matrix_type_20rocsparse_fill_mode_23rocsparse_storage_mode_P22rocsparse_data_status_
		.amdhsa_group_segment_fixed_size 0
		.amdhsa_private_segment_fixed_size 0
		.amdhsa_kernarg_size 80
		.amdhsa_user_sgpr_count 6
		.amdhsa_user_sgpr_private_segment_buffer 1
		.amdhsa_user_sgpr_dispatch_ptr 0
		.amdhsa_user_sgpr_queue_ptr 0
		.amdhsa_user_sgpr_kernarg_segment_ptr 1
		.amdhsa_user_sgpr_dispatch_id 0
		.amdhsa_user_sgpr_flat_scratch_init 0
		.amdhsa_user_sgpr_private_segment_size 0
		.amdhsa_uses_dynamic_stack 0
		.amdhsa_system_sgpr_private_segment_wavefront_offset 0
		.amdhsa_system_sgpr_workgroup_id_x 1
		.amdhsa_system_sgpr_workgroup_id_y 0
		.amdhsa_system_sgpr_workgroup_id_z 0
		.amdhsa_system_sgpr_workgroup_info 0
		.amdhsa_system_vgpr_workitem_id 0
		.amdhsa_next_free_vgpr 25
		.amdhsa_next_free_sgpr 48
		.amdhsa_reserve_vcc 1
		.amdhsa_reserve_flat_scratch 0
		.amdhsa_float_round_mode_32 0
		.amdhsa_float_round_mode_16_64 0
		.amdhsa_float_denorm_mode_32 3
		.amdhsa_float_denorm_mode_16_64 3
		.amdhsa_dx10_clamp 1
		.amdhsa_ieee_mode 1
		.amdhsa_fp16_overflow 0
		.amdhsa_exception_fp_ieee_invalid_op 0
		.amdhsa_exception_fp_denorm_src 0
		.amdhsa_exception_fp_ieee_div_zero 0
		.amdhsa_exception_fp_ieee_overflow 0
		.amdhsa_exception_fp_ieee_underflow 0
		.amdhsa_exception_fp_ieee_inexact 0
		.amdhsa_exception_int_div_zero 0
	.end_amdhsa_kernel
	.section	.text._ZN9rocsparseL23check_matrix_csr_deviceILj256ELj16EdllEEvT3_S1_T2_PKT1_PKS2_PKS1_S9_21rocsparse_index_base_22rocsparse_matrix_type_20rocsparse_fill_mode_23rocsparse_storage_mode_P22rocsparse_data_status_,"axG",@progbits,_ZN9rocsparseL23check_matrix_csr_deviceILj256ELj16EdllEEvT3_S1_T2_PKT1_PKS2_PKS1_S9_21rocsparse_index_base_22rocsparse_matrix_type_20rocsparse_fill_mode_23rocsparse_storage_mode_P22rocsparse_data_status_,comdat
.Lfunc_end71:
	.size	_ZN9rocsparseL23check_matrix_csr_deviceILj256ELj16EdllEEvT3_S1_T2_PKT1_PKS2_PKS1_S9_21rocsparse_index_base_22rocsparse_matrix_type_20rocsparse_fill_mode_23rocsparse_storage_mode_P22rocsparse_data_status_, .Lfunc_end71-_ZN9rocsparseL23check_matrix_csr_deviceILj256ELj16EdllEEvT3_S1_T2_PKT1_PKS2_PKS1_S9_21rocsparse_index_base_22rocsparse_matrix_type_20rocsparse_fill_mode_23rocsparse_storage_mode_P22rocsparse_data_status_
                                        ; -- End function
	.set _ZN9rocsparseL23check_matrix_csr_deviceILj256ELj16EdllEEvT3_S1_T2_PKT1_PKS2_PKS1_S9_21rocsparse_index_base_22rocsparse_matrix_type_20rocsparse_fill_mode_23rocsparse_storage_mode_P22rocsparse_data_status_.num_vgpr, 25
	.set _ZN9rocsparseL23check_matrix_csr_deviceILj256ELj16EdllEEvT3_S1_T2_PKT1_PKS2_PKS1_S9_21rocsparse_index_base_22rocsparse_matrix_type_20rocsparse_fill_mode_23rocsparse_storage_mode_P22rocsparse_data_status_.num_agpr, 0
	.set _ZN9rocsparseL23check_matrix_csr_deviceILj256ELj16EdllEEvT3_S1_T2_PKT1_PKS2_PKS1_S9_21rocsparse_index_base_22rocsparse_matrix_type_20rocsparse_fill_mode_23rocsparse_storage_mode_P22rocsparse_data_status_.numbered_sgpr, 48
	.set _ZN9rocsparseL23check_matrix_csr_deviceILj256ELj16EdllEEvT3_S1_T2_PKT1_PKS2_PKS1_S9_21rocsparse_index_base_22rocsparse_matrix_type_20rocsparse_fill_mode_23rocsparse_storage_mode_P22rocsparse_data_status_.num_named_barrier, 0
	.set _ZN9rocsparseL23check_matrix_csr_deviceILj256ELj16EdllEEvT3_S1_T2_PKT1_PKS2_PKS1_S9_21rocsparse_index_base_22rocsparse_matrix_type_20rocsparse_fill_mode_23rocsparse_storage_mode_P22rocsparse_data_status_.private_seg_size, 0
	.set _ZN9rocsparseL23check_matrix_csr_deviceILj256ELj16EdllEEvT3_S1_T2_PKT1_PKS2_PKS1_S9_21rocsparse_index_base_22rocsparse_matrix_type_20rocsparse_fill_mode_23rocsparse_storage_mode_P22rocsparse_data_status_.uses_vcc, 1
	.set _ZN9rocsparseL23check_matrix_csr_deviceILj256ELj16EdllEEvT3_S1_T2_PKT1_PKS2_PKS1_S9_21rocsparse_index_base_22rocsparse_matrix_type_20rocsparse_fill_mode_23rocsparse_storage_mode_P22rocsparse_data_status_.uses_flat_scratch, 0
	.set _ZN9rocsparseL23check_matrix_csr_deviceILj256ELj16EdllEEvT3_S1_T2_PKT1_PKS2_PKS1_S9_21rocsparse_index_base_22rocsparse_matrix_type_20rocsparse_fill_mode_23rocsparse_storage_mode_P22rocsparse_data_status_.has_dyn_sized_stack, 0
	.set _ZN9rocsparseL23check_matrix_csr_deviceILj256ELj16EdllEEvT3_S1_T2_PKT1_PKS2_PKS1_S9_21rocsparse_index_base_22rocsparse_matrix_type_20rocsparse_fill_mode_23rocsparse_storage_mode_P22rocsparse_data_status_.has_recursion, 0
	.set _ZN9rocsparseL23check_matrix_csr_deviceILj256ELj16EdllEEvT3_S1_T2_PKT1_PKS2_PKS1_S9_21rocsparse_index_base_22rocsparse_matrix_type_20rocsparse_fill_mode_23rocsparse_storage_mode_P22rocsparse_data_status_.has_indirect_call, 0
	.section	.AMDGPU.csdata,"",@progbits
; Kernel info:
; codeLenInByte = 924
; TotalNumSgprs: 52
; NumVgprs: 25
; ScratchSize: 0
; MemoryBound: 0
; FloatMode: 240
; IeeeMode: 1
; LDSByteSize: 0 bytes/workgroup (compile time only)
; SGPRBlocks: 6
; VGPRBlocks: 6
; NumSGPRsForWavesPerEU: 52
; NumVGPRsForWavesPerEU: 25
; Occupancy: 9
; WaveLimiterHint : 0
; COMPUTE_PGM_RSRC2:SCRATCH_EN: 0
; COMPUTE_PGM_RSRC2:USER_SGPR: 6
; COMPUTE_PGM_RSRC2:TRAP_HANDLER: 0
; COMPUTE_PGM_RSRC2:TGID_X_EN: 1
; COMPUTE_PGM_RSRC2:TGID_Y_EN: 0
; COMPUTE_PGM_RSRC2:TGID_Z_EN: 0
; COMPUTE_PGM_RSRC2:TIDIG_COMP_CNT: 0
	.section	.text._ZN9rocsparseL23check_matrix_csr_deviceILj256ELj32EdllEEvT3_S1_T2_PKT1_PKS2_PKS1_S9_21rocsparse_index_base_22rocsparse_matrix_type_20rocsparse_fill_mode_23rocsparse_storage_mode_P22rocsparse_data_status_,"axG",@progbits,_ZN9rocsparseL23check_matrix_csr_deviceILj256ELj32EdllEEvT3_S1_T2_PKT1_PKS2_PKS1_S9_21rocsparse_index_base_22rocsparse_matrix_type_20rocsparse_fill_mode_23rocsparse_storage_mode_P22rocsparse_data_status_,comdat
	.globl	_ZN9rocsparseL23check_matrix_csr_deviceILj256ELj32EdllEEvT3_S1_T2_PKT1_PKS2_PKS1_S9_21rocsparse_index_base_22rocsparse_matrix_type_20rocsparse_fill_mode_23rocsparse_storage_mode_P22rocsparse_data_status_ ; -- Begin function _ZN9rocsparseL23check_matrix_csr_deviceILj256ELj32EdllEEvT3_S1_T2_PKT1_PKS2_PKS1_S9_21rocsparse_index_base_22rocsparse_matrix_type_20rocsparse_fill_mode_23rocsparse_storage_mode_P22rocsparse_data_status_
	.p2align	8
	.type	_ZN9rocsparseL23check_matrix_csr_deviceILj256ELj32EdllEEvT3_S1_T2_PKT1_PKS2_PKS1_S9_21rocsparse_index_base_22rocsparse_matrix_type_20rocsparse_fill_mode_23rocsparse_storage_mode_P22rocsparse_data_status_,@function
_ZN9rocsparseL23check_matrix_csr_deviceILj256ELj32EdllEEvT3_S1_T2_PKT1_PKS2_PKS1_S9_21rocsparse_index_base_22rocsparse_matrix_type_20rocsparse_fill_mode_23rocsparse_storage_mode_P22rocsparse_data_status_: ; @_ZN9rocsparseL23check_matrix_csr_deviceILj256ELj32EdllEEvT3_S1_T2_PKT1_PKS2_PKS1_S9_21rocsparse_index_base_22rocsparse_matrix_type_20rocsparse_fill_mode_23rocsparse_storage_mode_P22rocsparse_data_status_
; %bb.0:
	s_load_dwordx4 s[16:19], s[4:5], 0x0
	v_lshl_or_b32 v1, s6, 8, v0
	v_lshrrev_b32_e32 v1, 5, v1
	v_mov_b32_e32 v2, 0
	s_waitcnt lgkmcnt(0)
	v_cmp_gt_i64_e32 vcc, s[16:17], v[1:2]
	s_and_saveexec_b64 s[0:1], vcc
	s_cbranch_execz .LBB72_31
; %bb.1:
	s_load_dwordx2 s[0:1], s[4:5], 0x20
	v_lshlrev_b32_e32 v3, 3, v1
	v_mov_b32_e32 v21, 3
	s_mov_b64 s[10:11], -1
	s_mov_b64 s[8:9], 0
	s_waitcnt lgkmcnt(0)
	global_load_dwordx4 v[7:10], v3, s[0:1]
	s_load_dwordx2 s[0:1], s[0:1], 0x0
	s_waitcnt lgkmcnt(0)
	v_mov_b32_e32 v6, s1
	s_waitcnt vmcnt(0)
	v_subrev_co_u32_e32 v3, vcc, s0, v7
	v_subb_co_u32_e32 v4, vcc, v8, v6, vcc
	v_subrev_co_u32_e32 v5, vcc, s0, v9
	v_subb_co_u32_e32 v6, vcc, v10, v6, vcc
	v_cmp_gt_i64_e64 s[0:1], 0, v[5:6]
	v_cmp_lt_i64_e64 s[2:3], v[9:10], v[7:8]
	v_cmp_lt_i64_e32 vcc, -1, v[3:4]
	s_or_b64 s[0:1], s[0:1], s[2:3]
	s_xor_b64 s[0:1], s[0:1], -1
	s_and_b64 s[0:1], vcc, s[0:1]
	s_and_saveexec_b64 s[6:7], s[0:1]
	s_cbranch_execz .LBB72_29
; %bb.2:
	v_and_b32_e32 v0, 31, v0
	v_add_co_u32_e32 v7, vcc, v3, v0
	v_addc_co_u32_e32 v8, vcc, 0, v4, vcc
	v_cmp_lt_u64_e32 vcc, v[7:8], v[5:6]
	v_mov_b32_e32 v21, 3
	s_and_saveexec_b64 s[16:17], vcc
	s_cbranch_execz .LBB72_28
; %bb.3:
	s_load_dwordx8 s[8:15], s[4:5], 0x28
	s_load_dwordx2 s[0:1], s[4:5], 0x18
	v_lshlrev_b64 v[13:14], 3, v[7:8]
                                        ; implicit-def: $sgpr24_sgpr25
                                        ; implicit-def: $sgpr26_sgpr27
                                        ; implicit-def: $sgpr28_sgpr29
	s_waitcnt lgkmcnt(0)
	v_mov_b32_e32 v0, s11
	v_add_co_u32_e32 v9, vcc, s10, v13
	v_addc_co_u32_e32 v0, vcc, v0, v14, vcc
	v_add_co_u32_e32 v9, vcc, -8, v9
	v_addc_co_u32_e32 v10, vcc, -1, v0, vcc
	s_cmp_lg_u32 s13, 0
	v_mov_b32_e32 v0, s1
	v_add_co_u32_e32 v11, vcc, s0, v13
	s_cselect_b64 s[20:21], -1, 0
	s_cmp_lg_u32 s14, 0
	v_addc_co_u32_e32 v12, vcc, v0, v14, vcc
	s_cselect_b64 s[22:23], -1, 0
	s_cmp_lg_u32 s15, 0
	v_mov_b32_e32 v0, s9
	v_add_co_u32_e32 v13, vcc, s8, v13
	s_mov_b32 s10, 0
	s_cselect_b64 s[14:15], -1, 0
	v_addc_co_u32_e32 v14, vcc, v0, v14, vcc
	s_mov_b32 s11, 0x7ff00000
	s_mov_b64 s[8:9], 0
	s_branch .LBB72_10
.LBB72_4:                               ;   in Loop: Header=BB72_10 Depth=1
	s_or_b64 exec, exec, s[0:1]
	s_orn2_b64 s[44:45], s[2:3], exec
	s_orn2_b64 s[0:1], s[40:41], exec
.LBB72_5:                               ;   in Loop: Header=BB72_10 Depth=1
	s_or_b64 exec, exec, s[42:43]
	s_orn2_b64 s[2:3], s[44:45], exec
	s_orn2_b64 s[0:1], s[0:1], exec
.LBB72_6:                               ;   in Loop: Header=BB72_10 Depth=1
	s_or_b64 exec, exec, s[38:39]
	s_orn2_b64 s[2:3], s[2:3], exec
	s_orn2_b64 s[0:1], s[0:1], exec
.LBB72_7:                               ;   in Loop: Header=BB72_10 Depth=1
	s_or_b64 exec, exec, s[36:37]
	s_orn2_b64 s[2:3], s[2:3], exec
	s_orn2_b64 s[0:1], s[0:1], exec
.LBB72_8:                               ;   in Loop: Header=BB72_10 Depth=1
	s_or_b64 exec, exec, s[34:35]
	s_andn2_b64 s[28:29], s[28:29], exec
	s_and_b64 s[2:3], s[2:3], exec
	s_or_b64 s[28:29], s[28:29], s[2:3]
	s_andn2_b64 s[2:3], s[26:27], exec
	s_and_b64 s[0:1], s[0:1], exec
	s_or_b64 s[26:27], s[2:3], s[0:1]
.LBB72_9:                               ;   in Loop: Header=BB72_10 Depth=1
	s_or_b64 exec, exec, s[30:31]
	s_and_b64 s[0:1], exec, s[26:27]
	s_or_b64 s[8:9], s[0:1], s[8:9]
	s_andn2_b64 s[0:1], s[24:25], exec
	s_and_b64 s[2:3], s[28:29], exec
	s_or_b64 s[24:25], s[0:1], s[2:3]
	s_andn2_b64 exec, exec, s[8:9]
	s_cbranch_execz .LBB72_27
.LBB72_10:                              ; =>This Inner Loop Header: Depth=1
	global_load_dwordx2 v[15:16], v[13:14], off
	v_mov_b32_e32 v21, 4
	s_or_b64 s[28:29], s[28:29], exec
	s_or_b64 s[26:27], s[26:27], exec
	s_waitcnt vmcnt(0)
	v_subrev_co_u32_e32 v17, vcc, s12, v15
	v_subbrev_co_u32_e32 v18, vcc, 0, v16, vcc
	v_cmp_lt_i64_e32 vcc, -1, v[17:18]
	v_cmp_gt_i64_e64 s[0:1], s[18:19], v[17:18]
	s_and_b64 s[0:1], vcc, s[0:1]
	s_and_saveexec_b64 s[30:31], s[0:1]
	s_cbranch_execz .LBB72_9
; %bb.11:                               ;   in Loop: Header=BB72_10 Depth=1
	v_cmp_le_i64_e64 s[40:41], v[7:8], v[3:4]
	v_cmp_gt_i64_e32 vcc, v[7:8], v[3:4]
	v_mov_b32_e32 v21, 4
	s_mov_b64 s[36:37], s[40:41]
	s_and_saveexec_b64 s[34:35], vcc
	s_cbranch_execz .LBB72_13
; %bb.12:                               ;   in Loop: Header=BB72_10 Depth=1
	global_load_dwordx4 v[19:22], v[9:10], off
	s_waitcnt vmcnt(0)
	v_subrev_co_u32_e32 v23, vcc, s12, v19
	v_subbrev_co_u32_e32 v24, vcc, 0, v20, vcc
	v_cmp_lt_i64_e64 s[0:1], -1, v[23:24]
	v_cmp_gt_i64_e64 s[2:3], s[18:19], v[23:24]
	v_cmp_ne_u64_e32 vcc, v[21:22], v[19:20]
	s_and_b64 s[0:1], s[0:1], s[2:3]
	s_xor_b64 s[0:1], s[0:1], -1
	s_or_b64 s[0:1], vcc, s[0:1]
	s_andn2_b64 s[2:3], s[40:41], exec
	s_and_b64 s[0:1], s[0:1], exec
	v_mov_b32_e32 v21, 5
	s_or_b64 s[36:37], s[2:3], s[0:1]
.LBB72_13:                              ;   in Loop: Header=BB72_10 Depth=1
	s_or_b64 exec, exec, s[34:35]
	s_mov_b64 s[0:1], -1
	s_mov_b64 s[2:3], -1
	s_and_saveexec_b64 s[34:35], s[36:37]
	s_cbranch_execz .LBB72_8
; %bb.14:                               ;   in Loop: Header=BB72_10 Depth=1
	global_load_dwordx2 v[19:20], v[11:12], off
	v_mov_b32_e32 v21, 1
	s_waitcnt vmcnt(0)
	v_cmp_neq_f64_e32 vcc, s[10:11], v[19:20]
	s_and_saveexec_b64 s[36:37], vcc
	s_cbranch_execz .LBB72_7
; %bb.15:                               ;   in Loop: Header=BB72_10 Depth=1
	v_cmp_o_f64_e32 vcc, v[19:20], v[19:20]
	v_mov_b32_e32 v21, 2
	s_and_saveexec_b64 s[38:39], vcc
	s_cbranch_execz .LBB72_6
; %bb.16:                               ;   in Loop: Header=BB72_10 Depth=1
	s_and_b64 vcc, exec, s[20:21]
	s_cbranch_vccz .LBB72_19
; %bb.17:                               ;   in Loop: Header=BB72_10 Depth=1
	s_and_b64 vcc, exec, s[22:23]
	s_cbranch_vccz .LBB72_20
; %bb.18:                               ;   in Loop: Header=BB72_10 Depth=1
	v_cmp_ge_i64_e32 vcc, v[17:18], v[1:2]
	s_mov_b32 s13, 7
	s_and_b64 s[2:3], vcc, exec
	s_cbranch_execz .LBB72_21
	s_branch .LBB72_22
.LBB72_19:                              ;   in Loop: Header=BB72_10 Depth=1
	s_mov_b32 s13, 2
	s_branch .LBB72_22
.LBB72_20:                              ;   in Loop: Header=BB72_10 Depth=1
	s_mov_b64 s[2:3], 0
	s_mov_b32 s13, 2
.LBB72_21:                              ;   in Loop: Header=BB72_10 Depth=1
	v_cmp_le_i64_e32 vcc, v[17:18], v[1:2]
	s_andn2_b64 s[2:3], s[2:3], exec
	s_and_b64 s[42:43], vcc, exec
	s_mov_b32 s13, 7
	s_or_b64 s[2:3], s[2:3], s[42:43]
.LBB72_22:                              ;   in Loop: Header=BB72_10 Depth=1
	v_mov_b32_e32 v21, s13
	s_mov_b64 s[44:45], -1
	s_and_saveexec_b64 s[42:43], s[2:3]
	s_cbranch_execz .LBB72_5
; %bb.23:                               ;   in Loop: Header=BB72_10 Depth=1
	s_nor_b64 s[0:1], s[14:15], s[40:41]
	s_mov_b64 s[40:41], -1
	v_mov_b32_e32 v21, s13
	s_mov_b64 s[46:47], -1
	s_and_saveexec_b64 s[44:45], s[0:1]
	s_cbranch_execz .LBB72_25
; %bb.24:                               ;   in Loop: Header=BB72_10 Depth=1
	global_load_dwordx2 v[17:18], v[13:14], off offset:-8
	v_mov_b32_e32 v21, 6
	s_waitcnt vmcnt(0)
	v_subrev_co_u32_e32 v19, vcc, s12, v17
	v_subbrev_co_u32_e32 v20, vcc, 0, v18, vcc
	v_cmp_lt_i64_e32 vcc, -1, v[19:20]
	v_cmp_gt_i64_e64 s[0:1], s[18:19], v[19:20]
	v_cmp_gt_i64_e64 s[2:3], v[15:16], v[17:18]
	s_and_b64 s[0:1], vcc, s[0:1]
	s_xor_b64 s[0:1], s[0:1], -1
	s_or_b64 s[0:1], s[2:3], s[0:1]
	s_orn2_b64 s[46:47], s[0:1], exec
.LBB72_25:                              ;   in Loop: Header=BB72_10 Depth=1
	s_or_b64 exec, exec, s[44:45]
	s_mov_b64 s[2:3], -1
	s_and_saveexec_b64 s[0:1], s[46:47]
	s_cbranch_execz .LBB72_4
; %bb.26:                               ;   in Loop: Header=BB72_10 Depth=1
	v_add_co_u32_e32 v7, vcc, 32, v7
	v_addc_co_u32_e32 v8, vcc, 0, v8, vcc
	v_add_co_u32_e32 v9, vcc, 0x100, v9
	v_addc_co_u32_e32 v10, vcc, 0, v10, vcc
	;; [unrolled: 2-line block ×4, first 2 shown]
	v_cmp_ge_i64_e32 vcc, v[7:8], v[5:6]
	s_xor_b64 s[2:3], exec, -1
	s_orn2_b64 s[40:41], vcc, exec
	s_branch .LBB72_4
.LBB72_27:
	s_or_b64 exec, exec, s[8:9]
	s_and_b64 s[8:9], s[24:25], exec
.LBB72_28:
	s_or_b64 exec, exec, s[16:17]
	s_orn2_b64 s[10:11], s[8:9], exec
.LBB72_29:
	s_or_b64 exec, exec, s[6:7]
	s_and_b64 exec, exec, s[10:11]
	s_cbranch_execz .LBB72_31
; %bb.30:
	s_load_dwordx2 s[0:1], s[4:5], 0x48
	v_mov_b32_e32 v0, 0
	s_waitcnt lgkmcnt(0)
	global_store_dword v0, v21, s[0:1]
.LBB72_31:
	s_endpgm
	.section	.rodata,"a",@progbits
	.p2align	6, 0x0
	.amdhsa_kernel _ZN9rocsparseL23check_matrix_csr_deviceILj256ELj32EdllEEvT3_S1_T2_PKT1_PKS2_PKS1_S9_21rocsparse_index_base_22rocsparse_matrix_type_20rocsparse_fill_mode_23rocsparse_storage_mode_P22rocsparse_data_status_
		.amdhsa_group_segment_fixed_size 0
		.amdhsa_private_segment_fixed_size 0
		.amdhsa_kernarg_size 80
		.amdhsa_user_sgpr_count 6
		.amdhsa_user_sgpr_private_segment_buffer 1
		.amdhsa_user_sgpr_dispatch_ptr 0
		.amdhsa_user_sgpr_queue_ptr 0
		.amdhsa_user_sgpr_kernarg_segment_ptr 1
		.amdhsa_user_sgpr_dispatch_id 0
		.amdhsa_user_sgpr_flat_scratch_init 0
		.amdhsa_user_sgpr_private_segment_size 0
		.amdhsa_uses_dynamic_stack 0
		.amdhsa_system_sgpr_private_segment_wavefront_offset 0
		.amdhsa_system_sgpr_workgroup_id_x 1
		.amdhsa_system_sgpr_workgroup_id_y 0
		.amdhsa_system_sgpr_workgroup_id_z 0
		.amdhsa_system_sgpr_workgroup_info 0
		.amdhsa_system_vgpr_workitem_id 0
		.amdhsa_next_free_vgpr 25
		.amdhsa_next_free_sgpr 48
		.amdhsa_reserve_vcc 1
		.amdhsa_reserve_flat_scratch 0
		.amdhsa_float_round_mode_32 0
		.amdhsa_float_round_mode_16_64 0
		.amdhsa_float_denorm_mode_32 3
		.amdhsa_float_denorm_mode_16_64 3
		.amdhsa_dx10_clamp 1
		.amdhsa_ieee_mode 1
		.amdhsa_fp16_overflow 0
		.amdhsa_exception_fp_ieee_invalid_op 0
		.amdhsa_exception_fp_denorm_src 0
		.amdhsa_exception_fp_ieee_div_zero 0
		.amdhsa_exception_fp_ieee_overflow 0
		.amdhsa_exception_fp_ieee_underflow 0
		.amdhsa_exception_fp_ieee_inexact 0
		.amdhsa_exception_int_div_zero 0
	.end_amdhsa_kernel
	.section	.text._ZN9rocsparseL23check_matrix_csr_deviceILj256ELj32EdllEEvT3_S1_T2_PKT1_PKS2_PKS1_S9_21rocsparse_index_base_22rocsparse_matrix_type_20rocsparse_fill_mode_23rocsparse_storage_mode_P22rocsparse_data_status_,"axG",@progbits,_ZN9rocsparseL23check_matrix_csr_deviceILj256ELj32EdllEEvT3_S1_T2_PKT1_PKS2_PKS1_S9_21rocsparse_index_base_22rocsparse_matrix_type_20rocsparse_fill_mode_23rocsparse_storage_mode_P22rocsparse_data_status_,comdat
.Lfunc_end72:
	.size	_ZN9rocsparseL23check_matrix_csr_deviceILj256ELj32EdllEEvT3_S1_T2_PKT1_PKS2_PKS1_S9_21rocsparse_index_base_22rocsparse_matrix_type_20rocsparse_fill_mode_23rocsparse_storage_mode_P22rocsparse_data_status_, .Lfunc_end72-_ZN9rocsparseL23check_matrix_csr_deviceILj256ELj32EdllEEvT3_S1_T2_PKT1_PKS2_PKS1_S9_21rocsparse_index_base_22rocsparse_matrix_type_20rocsparse_fill_mode_23rocsparse_storage_mode_P22rocsparse_data_status_
                                        ; -- End function
	.set _ZN9rocsparseL23check_matrix_csr_deviceILj256ELj32EdllEEvT3_S1_T2_PKT1_PKS2_PKS1_S9_21rocsparse_index_base_22rocsparse_matrix_type_20rocsparse_fill_mode_23rocsparse_storage_mode_P22rocsparse_data_status_.num_vgpr, 25
	.set _ZN9rocsparseL23check_matrix_csr_deviceILj256ELj32EdllEEvT3_S1_T2_PKT1_PKS2_PKS1_S9_21rocsparse_index_base_22rocsparse_matrix_type_20rocsparse_fill_mode_23rocsparse_storage_mode_P22rocsparse_data_status_.num_agpr, 0
	.set _ZN9rocsparseL23check_matrix_csr_deviceILj256ELj32EdllEEvT3_S1_T2_PKT1_PKS2_PKS1_S9_21rocsparse_index_base_22rocsparse_matrix_type_20rocsparse_fill_mode_23rocsparse_storage_mode_P22rocsparse_data_status_.numbered_sgpr, 48
	.set _ZN9rocsparseL23check_matrix_csr_deviceILj256ELj32EdllEEvT3_S1_T2_PKT1_PKS2_PKS1_S9_21rocsparse_index_base_22rocsparse_matrix_type_20rocsparse_fill_mode_23rocsparse_storage_mode_P22rocsparse_data_status_.num_named_barrier, 0
	.set _ZN9rocsparseL23check_matrix_csr_deviceILj256ELj32EdllEEvT3_S1_T2_PKT1_PKS2_PKS1_S9_21rocsparse_index_base_22rocsparse_matrix_type_20rocsparse_fill_mode_23rocsparse_storage_mode_P22rocsparse_data_status_.private_seg_size, 0
	.set _ZN9rocsparseL23check_matrix_csr_deviceILj256ELj32EdllEEvT3_S1_T2_PKT1_PKS2_PKS1_S9_21rocsparse_index_base_22rocsparse_matrix_type_20rocsparse_fill_mode_23rocsparse_storage_mode_P22rocsparse_data_status_.uses_vcc, 1
	.set _ZN9rocsparseL23check_matrix_csr_deviceILj256ELj32EdllEEvT3_S1_T2_PKT1_PKS2_PKS1_S9_21rocsparse_index_base_22rocsparse_matrix_type_20rocsparse_fill_mode_23rocsparse_storage_mode_P22rocsparse_data_status_.uses_flat_scratch, 0
	.set _ZN9rocsparseL23check_matrix_csr_deviceILj256ELj32EdllEEvT3_S1_T2_PKT1_PKS2_PKS1_S9_21rocsparse_index_base_22rocsparse_matrix_type_20rocsparse_fill_mode_23rocsparse_storage_mode_P22rocsparse_data_status_.has_dyn_sized_stack, 0
	.set _ZN9rocsparseL23check_matrix_csr_deviceILj256ELj32EdllEEvT3_S1_T2_PKT1_PKS2_PKS1_S9_21rocsparse_index_base_22rocsparse_matrix_type_20rocsparse_fill_mode_23rocsparse_storage_mode_P22rocsparse_data_status_.has_recursion, 0
	.set _ZN9rocsparseL23check_matrix_csr_deviceILj256ELj32EdllEEvT3_S1_T2_PKT1_PKS2_PKS1_S9_21rocsparse_index_base_22rocsparse_matrix_type_20rocsparse_fill_mode_23rocsparse_storage_mode_P22rocsparse_data_status_.has_indirect_call, 0
	.section	.AMDGPU.csdata,"",@progbits
; Kernel info:
; codeLenInByte = 924
; TotalNumSgprs: 52
; NumVgprs: 25
; ScratchSize: 0
; MemoryBound: 0
; FloatMode: 240
; IeeeMode: 1
; LDSByteSize: 0 bytes/workgroup (compile time only)
; SGPRBlocks: 6
; VGPRBlocks: 6
; NumSGPRsForWavesPerEU: 52
; NumVGPRsForWavesPerEU: 25
; Occupancy: 9
; WaveLimiterHint : 0
; COMPUTE_PGM_RSRC2:SCRATCH_EN: 0
; COMPUTE_PGM_RSRC2:USER_SGPR: 6
; COMPUTE_PGM_RSRC2:TRAP_HANDLER: 0
; COMPUTE_PGM_RSRC2:TGID_X_EN: 1
; COMPUTE_PGM_RSRC2:TGID_Y_EN: 0
; COMPUTE_PGM_RSRC2:TGID_Z_EN: 0
; COMPUTE_PGM_RSRC2:TIDIG_COMP_CNT: 0
	.section	.text._ZN9rocsparseL23check_matrix_csr_deviceILj256ELj64EdllEEvT3_S1_T2_PKT1_PKS2_PKS1_S9_21rocsparse_index_base_22rocsparse_matrix_type_20rocsparse_fill_mode_23rocsparse_storage_mode_P22rocsparse_data_status_,"axG",@progbits,_ZN9rocsparseL23check_matrix_csr_deviceILj256ELj64EdllEEvT3_S1_T2_PKT1_PKS2_PKS1_S9_21rocsparse_index_base_22rocsparse_matrix_type_20rocsparse_fill_mode_23rocsparse_storage_mode_P22rocsparse_data_status_,comdat
	.globl	_ZN9rocsparseL23check_matrix_csr_deviceILj256ELj64EdllEEvT3_S1_T2_PKT1_PKS2_PKS1_S9_21rocsparse_index_base_22rocsparse_matrix_type_20rocsparse_fill_mode_23rocsparse_storage_mode_P22rocsparse_data_status_ ; -- Begin function _ZN9rocsparseL23check_matrix_csr_deviceILj256ELj64EdllEEvT3_S1_T2_PKT1_PKS2_PKS1_S9_21rocsparse_index_base_22rocsparse_matrix_type_20rocsparse_fill_mode_23rocsparse_storage_mode_P22rocsparse_data_status_
	.p2align	8
	.type	_ZN9rocsparseL23check_matrix_csr_deviceILj256ELj64EdllEEvT3_S1_T2_PKT1_PKS2_PKS1_S9_21rocsparse_index_base_22rocsparse_matrix_type_20rocsparse_fill_mode_23rocsparse_storage_mode_P22rocsparse_data_status_,@function
_ZN9rocsparseL23check_matrix_csr_deviceILj256ELj64EdllEEvT3_S1_T2_PKT1_PKS2_PKS1_S9_21rocsparse_index_base_22rocsparse_matrix_type_20rocsparse_fill_mode_23rocsparse_storage_mode_P22rocsparse_data_status_: ; @_ZN9rocsparseL23check_matrix_csr_deviceILj256ELj64EdllEEvT3_S1_T2_PKT1_PKS2_PKS1_S9_21rocsparse_index_base_22rocsparse_matrix_type_20rocsparse_fill_mode_23rocsparse_storage_mode_P22rocsparse_data_status_
; %bb.0:
	s_load_dwordx4 s[16:19], s[4:5], 0x0
	v_lshl_or_b32 v1, s6, 8, v0
	v_lshrrev_b32_e32 v1, 6, v1
	v_mov_b32_e32 v2, 0
	s_waitcnt lgkmcnt(0)
	v_cmp_gt_i64_e32 vcc, s[16:17], v[1:2]
	s_and_saveexec_b64 s[0:1], vcc
	s_cbranch_execz .LBB73_31
; %bb.1:
	s_load_dwordx2 s[0:1], s[4:5], 0x20
	v_lshlrev_b32_e32 v3, 3, v1
	v_mov_b32_e32 v21, 3
	s_mov_b64 s[10:11], -1
	s_mov_b64 s[8:9], 0
	s_waitcnt lgkmcnt(0)
	global_load_dwordx4 v[7:10], v3, s[0:1]
	s_load_dwordx2 s[0:1], s[0:1], 0x0
	s_waitcnt lgkmcnt(0)
	v_mov_b32_e32 v6, s1
	s_waitcnt vmcnt(0)
	v_subrev_co_u32_e32 v3, vcc, s0, v7
	v_subb_co_u32_e32 v4, vcc, v8, v6, vcc
	v_subrev_co_u32_e32 v5, vcc, s0, v9
	v_subb_co_u32_e32 v6, vcc, v10, v6, vcc
	v_cmp_gt_i64_e64 s[0:1], 0, v[5:6]
	v_cmp_lt_i64_e64 s[2:3], v[9:10], v[7:8]
	v_cmp_lt_i64_e32 vcc, -1, v[3:4]
	s_or_b64 s[0:1], s[0:1], s[2:3]
	s_xor_b64 s[0:1], s[0:1], -1
	s_and_b64 s[0:1], vcc, s[0:1]
	s_and_saveexec_b64 s[6:7], s[0:1]
	s_cbranch_execz .LBB73_29
; %bb.2:
	v_and_b32_e32 v0, 63, v0
	v_add_co_u32_e32 v7, vcc, v3, v0
	v_addc_co_u32_e32 v8, vcc, 0, v4, vcc
	v_cmp_lt_u64_e32 vcc, v[7:8], v[5:6]
	v_mov_b32_e32 v21, 3
	s_and_saveexec_b64 s[16:17], vcc
	s_cbranch_execz .LBB73_28
; %bb.3:
	s_load_dwordx8 s[8:15], s[4:5], 0x28
	s_load_dwordx2 s[0:1], s[4:5], 0x18
	v_lshlrev_b64 v[13:14], 3, v[7:8]
                                        ; implicit-def: $sgpr24_sgpr25
                                        ; implicit-def: $sgpr26_sgpr27
                                        ; implicit-def: $sgpr28_sgpr29
	s_waitcnt lgkmcnt(0)
	v_mov_b32_e32 v0, s11
	v_add_co_u32_e32 v9, vcc, s10, v13
	v_addc_co_u32_e32 v0, vcc, v0, v14, vcc
	v_add_co_u32_e32 v9, vcc, -8, v9
	v_addc_co_u32_e32 v10, vcc, -1, v0, vcc
	s_cmp_lg_u32 s13, 0
	v_mov_b32_e32 v0, s1
	v_add_co_u32_e32 v11, vcc, s0, v13
	s_cselect_b64 s[20:21], -1, 0
	s_cmp_lg_u32 s14, 0
	v_addc_co_u32_e32 v12, vcc, v0, v14, vcc
	s_cselect_b64 s[22:23], -1, 0
	s_cmp_lg_u32 s15, 0
	v_mov_b32_e32 v0, s9
	v_add_co_u32_e32 v13, vcc, s8, v13
	s_mov_b32 s10, 0
	s_cselect_b64 s[14:15], -1, 0
	v_addc_co_u32_e32 v14, vcc, v0, v14, vcc
	s_mov_b32 s11, 0x7ff00000
	s_mov_b64 s[8:9], 0
	s_branch .LBB73_10
.LBB73_4:                               ;   in Loop: Header=BB73_10 Depth=1
	s_or_b64 exec, exec, s[0:1]
	s_orn2_b64 s[44:45], s[2:3], exec
	s_orn2_b64 s[0:1], s[40:41], exec
.LBB73_5:                               ;   in Loop: Header=BB73_10 Depth=1
	s_or_b64 exec, exec, s[42:43]
	s_orn2_b64 s[2:3], s[44:45], exec
	s_orn2_b64 s[0:1], s[0:1], exec
.LBB73_6:                               ;   in Loop: Header=BB73_10 Depth=1
	s_or_b64 exec, exec, s[38:39]
	s_orn2_b64 s[2:3], s[2:3], exec
	s_orn2_b64 s[0:1], s[0:1], exec
.LBB73_7:                               ;   in Loop: Header=BB73_10 Depth=1
	s_or_b64 exec, exec, s[36:37]
	s_orn2_b64 s[2:3], s[2:3], exec
	s_orn2_b64 s[0:1], s[0:1], exec
.LBB73_8:                               ;   in Loop: Header=BB73_10 Depth=1
	s_or_b64 exec, exec, s[34:35]
	s_andn2_b64 s[28:29], s[28:29], exec
	s_and_b64 s[2:3], s[2:3], exec
	s_or_b64 s[28:29], s[28:29], s[2:3]
	s_andn2_b64 s[2:3], s[26:27], exec
	s_and_b64 s[0:1], s[0:1], exec
	s_or_b64 s[26:27], s[2:3], s[0:1]
.LBB73_9:                               ;   in Loop: Header=BB73_10 Depth=1
	s_or_b64 exec, exec, s[30:31]
	s_and_b64 s[0:1], exec, s[26:27]
	s_or_b64 s[8:9], s[0:1], s[8:9]
	s_andn2_b64 s[0:1], s[24:25], exec
	s_and_b64 s[2:3], s[28:29], exec
	s_or_b64 s[24:25], s[0:1], s[2:3]
	s_andn2_b64 exec, exec, s[8:9]
	s_cbranch_execz .LBB73_27
.LBB73_10:                              ; =>This Inner Loop Header: Depth=1
	global_load_dwordx2 v[15:16], v[13:14], off
	v_mov_b32_e32 v21, 4
	s_or_b64 s[28:29], s[28:29], exec
	s_or_b64 s[26:27], s[26:27], exec
	s_waitcnt vmcnt(0)
	v_subrev_co_u32_e32 v17, vcc, s12, v15
	v_subbrev_co_u32_e32 v18, vcc, 0, v16, vcc
	v_cmp_lt_i64_e32 vcc, -1, v[17:18]
	v_cmp_gt_i64_e64 s[0:1], s[18:19], v[17:18]
	s_and_b64 s[0:1], vcc, s[0:1]
	s_and_saveexec_b64 s[30:31], s[0:1]
	s_cbranch_execz .LBB73_9
; %bb.11:                               ;   in Loop: Header=BB73_10 Depth=1
	v_cmp_le_i64_e64 s[40:41], v[7:8], v[3:4]
	v_cmp_gt_i64_e32 vcc, v[7:8], v[3:4]
	v_mov_b32_e32 v21, 4
	s_mov_b64 s[36:37], s[40:41]
	s_and_saveexec_b64 s[34:35], vcc
	s_cbranch_execz .LBB73_13
; %bb.12:                               ;   in Loop: Header=BB73_10 Depth=1
	global_load_dwordx4 v[19:22], v[9:10], off
	s_waitcnt vmcnt(0)
	v_subrev_co_u32_e32 v23, vcc, s12, v19
	v_subbrev_co_u32_e32 v24, vcc, 0, v20, vcc
	v_cmp_lt_i64_e64 s[0:1], -1, v[23:24]
	v_cmp_gt_i64_e64 s[2:3], s[18:19], v[23:24]
	v_cmp_ne_u64_e32 vcc, v[21:22], v[19:20]
	s_and_b64 s[0:1], s[0:1], s[2:3]
	s_xor_b64 s[0:1], s[0:1], -1
	s_or_b64 s[0:1], vcc, s[0:1]
	s_andn2_b64 s[2:3], s[40:41], exec
	s_and_b64 s[0:1], s[0:1], exec
	v_mov_b32_e32 v21, 5
	s_or_b64 s[36:37], s[2:3], s[0:1]
.LBB73_13:                              ;   in Loop: Header=BB73_10 Depth=1
	s_or_b64 exec, exec, s[34:35]
	s_mov_b64 s[0:1], -1
	s_mov_b64 s[2:3], -1
	s_and_saveexec_b64 s[34:35], s[36:37]
	s_cbranch_execz .LBB73_8
; %bb.14:                               ;   in Loop: Header=BB73_10 Depth=1
	global_load_dwordx2 v[19:20], v[11:12], off
	v_mov_b32_e32 v21, 1
	s_waitcnt vmcnt(0)
	v_cmp_neq_f64_e32 vcc, s[10:11], v[19:20]
	s_and_saveexec_b64 s[36:37], vcc
	s_cbranch_execz .LBB73_7
; %bb.15:                               ;   in Loop: Header=BB73_10 Depth=1
	v_cmp_o_f64_e32 vcc, v[19:20], v[19:20]
	v_mov_b32_e32 v21, 2
	s_and_saveexec_b64 s[38:39], vcc
	s_cbranch_execz .LBB73_6
; %bb.16:                               ;   in Loop: Header=BB73_10 Depth=1
	s_and_b64 vcc, exec, s[20:21]
	s_cbranch_vccz .LBB73_19
; %bb.17:                               ;   in Loop: Header=BB73_10 Depth=1
	s_and_b64 vcc, exec, s[22:23]
	s_cbranch_vccz .LBB73_20
; %bb.18:                               ;   in Loop: Header=BB73_10 Depth=1
	v_cmp_ge_i64_e32 vcc, v[17:18], v[1:2]
	s_mov_b32 s13, 7
	s_and_b64 s[2:3], vcc, exec
	s_cbranch_execz .LBB73_21
	s_branch .LBB73_22
.LBB73_19:                              ;   in Loop: Header=BB73_10 Depth=1
	s_mov_b32 s13, 2
	s_branch .LBB73_22
.LBB73_20:                              ;   in Loop: Header=BB73_10 Depth=1
	s_mov_b64 s[2:3], 0
	s_mov_b32 s13, 2
.LBB73_21:                              ;   in Loop: Header=BB73_10 Depth=1
	v_cmp_le_i64_e32 vcc, v[17:18], v[1:2]
	s_andn2_b64 s[2:3], s[2:3], exec
	s_and_b64 s[42:43], vcc, exec
	s_mov_b32 s13, 7
	s_or_b64 s[2:3], s[2:3], s[42:43]
.LBB73_22:                              ;   in Loop: Header=BB73_10 Depth=1
	v_mov_b32_e32 v21, s13
	s_mov_b64 s[44:45], -1
	s_and_saveexec_b64 s[42:43], s[2:3]
	s_cbranch_execz .LBB73_5
; %bb.23:                               ;   in Loop: Header=BB73_10 Depth=1
	s_nor_b64 s[0:1], s[14:15], s[40:41]
	s_mov_b64 s[40:41], -1
	v_mov_b32_e32 v21, s13
	s_mov_b64 s[46:47], -1
	s_and_saveexec_b64 s[44:45], s[0:1]
	s_cbranch_execz .LBB73_25
; %bb.24:                               ;   in Loop: Header=BB73_10 Depth=1
	global_load_dwordx2 v[17:18], v[13:14], off offset:-8
	v_mov_b32_e32 v21, 6
	s_waitcnt vmcnt(0)
	v_subrev_co_u32_e32 v19, vcc, s12, v17
	v_subbrev_co_u32_e32 v20, vcc, 0, v18, vcc
	v_cmp_lt_i64_e32 vcc, -1, v[19:20]
	v_cmp_gt_i64_e64 s[0:1], s[18:19], v[19:20]
	v_cmp_gt_i64_e64 s[2:3], v[15:16], v[17:18]
	s_and_b64 s[0:1], vcc, s[0:1]
	s_xor_b64 s[0:1], s[0:1], -1
	s_or_b64 s[0:1], s[2:3], s[0:1]
	s_orn2_b64 s[46:47], s[0:1], exec
.LBB73_25:                              ;   in Loop: Header=BB73_10 Depth=1
	s_or_b64 exec, exec, s[44:45]
	s_mov_b64 s[2:3], -1
	s_and_saveexec_b64 s[0:1], s[46:47]
	s_cbranch_execz .LBB73_4
; %bb.26:                               ;   in Loop: Header=BB73_10 Depth=1
	v_add_co_u32_e32 v7, vcc, 64, v7
	v_addc_co_u32_e32 v8, vcc, 0, v8, vcc
	v_add_co_u32_e32 v9, vcc, 0x200, v9
	v_addc_co_u32_e32 v10, vcc, 0, v10, vcc
	;; [unrolled: 2-line block ×4, first 2 shown]
	v_cmp_ge_i64_e32 vcc, v[7:8], v[5:6]
	s_xor_b64 s[2:3], exec, -1
	s_orn2_b64 s[40:41], vcc, exec
	s_branch .LBB73_4
.LBB73_27:
	s_or_b64 exec, exec, s[8:9]
	s_and_b64 s[8:9], s[24:25], exec
.LBB73_28:
	s_or_b64 exec, exec, s[16:17]
	s_orn2_b64 s[10:11], s[8:9], exec
.LBB73_29:
	s_or_b64 exec, exec, s[6:7]
	s_and_b64 exec, exec, s[10:11]
	s_cbranch_execz .LBB73_31
; %bb.30:
	s_load_dwordx2 s[0:1], s[4:5], 0x48
	v_mov_b32_e32 v0, 0
	s_waitcnt lgkmcnt(0)
	global_store_dword v0, v21, s[0:1]
.LBB73_31:
	s_endpgm
	.section	.rodata,"a",@progbits
	.p2align	6, 0x0
	.amdhsa_kernel _ZN9rocsparseL23check_matrix_csr_deviceILj256ELj64EdllEEvT3_S1_T2_PKT1_PKS2_PKS1_S9_21rocsparse_index_base_22rocsparse_matrix_type_20rocsparse_fill_mode_23rocsparse_storage_mode_P22rocsparse_data_status_
		.amdhsa_group_segment_fixed_size 0
		.amdhsa_private_segment_fixed_size 0
		.amdhsa_kernarg_size 80
		.amdhsa_user_sgpr_count 6
		.amdhsa_user_sgpr_private_segment_buffer 1
		.amdhsa_user_sgpr_dispatch_ptr 0
		.amdhsa_user_sgpr_queue_ptr 0
		.amdhsa_user_sgpr_kernarg_segment_ptr 1
		.amdhsa_user_sgpr_dispatch_id 0
		.amdhsa_user_sgpr_flat_scratch_init 0
		.amdhsa_user_sgpr_private_segment_size 0
		.amdhsa_uses_dynamic_stack 0
		.amdhsa_system_sgpr_private_segment_wavefront_offset 0
		.amdhsa_system_sgpr_workgroup_id_x 1
		.amdhsa_system_sgpr_workgroup_id_y 0
		.amdhsa_system_sgpr_workgroup_id_z 0
		.amdhsa_system_sgpr_workgroup_info 0
		.amdhsa_system_vgpr_workitem_id 0
		.amdhsa_next_free_vgpr 25
		.amdhsa_next_free_sgpr 48
		.amdhsa_reserve_vcc 1
		.amdhsa_reserve_flat_scratch 0
		.amdhsa_float_round_mode_32 0
		.amdhsa_float_round_mode_16_64 0
		.amdhsa_float_denorm_mode_32 3
		.amdhsa_float_denorm_mode_16_64 3
		.amdhsa_dx10_clamp 1
		.amdhsa_ieee_mode 1
		.amdhsa_fp16_overflow 0
		.amdhsa_exception_fp_ieee_invalid_op 0
		.amdhsa_exception_fp_denorm_src 0
		.amdhsa_exception_fp_ieee_div_zero 0
		.amdhsa_exception_fp_ieee_overflow 0
		.amdhsa_exception_fp_ieee_underflow 0
		.amdhsa_exception_fp_ieee_inexact 0
		.amdhsa_exception_int_div_zero 0
	.end_amdhsa_kernel
	.section	.text._ZN9rocsparseL23check_matrix_csr_deviceILj256ELj64EdllEEvT3_S1_T2_PKT1_PKS2_PKS1_S9_21rocsparse_index_base_22rocsparse_matrix_type_20rocsparse_fill_mode_23rocsparse_storage_mode_P22rocsparse_data_status_,"axG",@progbits,_ZN9rocsparseL23check_matrix_csr_deviceILj256ELj64EdllEEvT3_S1_T2_PKT1_PKS2_PKS1_S9_21rocsparse_index_base_22rocsparse_matrix_type_20rocsparse_fill_mode_23rocsparse_storage_mode_P22rocsparse_data_status_,comdat
.Lfunc_end73:
	.size	_ZN9rocsparseL23check_matrix_csr_deviceILj256ELj64EdllEEvT3_S1_T2_PKT1_PKS2_PKS1_S9_21rocsparse_index_base_22rocsparse_matrix_type_20rocsparse_fill_mode_23rocsparse_storage_mode_P22rocsparse_data_status_, .Lfunc_end73-_ZN9rocsparseL23check_matrix_csr_deviceILj256ELj64EdllEEvT3_S1_T2_PKT1_PKS2_PKS1_S9_21rocsparse_index_base_22rocsparse_matrix_type_20rocsparse_fill_mode_23rocsparse_storage_mode_P22rocsparse_data_status_
                                        ; -- End function
	.set _ZN9rocsparseL23check_matrix_csr_deviceILj256ELj64EdllEEvT3_S1_T2_PKT1_PKS2_PKS1_S9_21rocsparse_index_base_22rocsparse_matrix_type_20rocsparse_fill_mode_23rocsparse_storage_mode_P22rocsparse_data_status_.num_vgpr, 25
	.set _ZN9rocsparseL23check_matrix_csr_deviceILj256ELj64EdllEEvT3_S1_T2_PKT1_PKS2_PKS1_S9_21rocsparse_index_base_22rocsparse_matrix_type_20rocsparse_fill_mode_23rocsparse_storage_mode_P22rocsparse_data_status_.num_agpr, 0
	.set _ZN9rocsparseL23check_matrix_csr_deviceILj256ELj64EdllEEvT3_S1_T2_PKT1_PKS2_PKS1_S9_21rocsparse_index_base_22rocsparse_matrix_type_20rocsparse_fill_mode_23rocsparse_storage_mode_P22rocsparse_data_status_.numbered_sgpr, 48
	.set _ZN9rocsparseL23check_matrix_csr_deviceILj256ELj64EdllEEvT3_S1_T2_PKT1_PKS2_PKS1_S9_21rocsparse_index_base_22rocsparse_matrix_type_20rocsparse_fill_mode_23rocsparse_storage_mode_P22rocsparse_data_status_.num_named_barrier, 0
	.set _ZN9rocsparseL23check_matrix_csr_deviceILj256ELj64EdllEEvT3_S1_T2_PKT1_PKS2_PKS1_S9_21rocsparse_index_base_22rocsparse_matrix_type_20rocsparse_fill_mode_23rocsparse_storage_mode_P22rocsparse_data_status_.private_seg_size, 0
	.set _ZN9rocsparseL23check_matrix_csr_deviceILj256ELj64EdllEEvT3_S1_T2_PKT1_PKS2_PKS1_S9_21rocsparse_index_base_22rocsparse_matrix_type_20rocsparse_fill_mode_23rocsparse_storage_mode_P22rocsparse_data_status_.uses_vcc, 1
	.set _ZN9rocsparseL23check_matrix_csr_deviceILj256ELj64EdllEEvT3_S1_T2_PKT1_PKS2_PKS1_S9_21rocsparse_index_base_22rocsparse_matrix_type_20rocsparse_fill_mode_23rocsparse_storage_mode_P22rocsparse_data_status_.uses_flat_scratch, 0
	.set _ZN9rocsparseL23check_matrix_csr_deviceILj256ELj64EdllEEvT3_S1_T2_PKT1_PKS2_PKS1_S9_21rocsparse_index_base_22rocsparse_matrix_type_20rocsparse_fill_mode_23rocsparse_storage_mode_P22rocsparse_data_status_.has_dyn_sized_stack, 0
	.set _ZN9rocsparseL23check_matrix_csr_deviceILj256ELj64EdllEEvT3_S1_T2_PKT1_PKS2_PKS1_S9_21rocsparse_index_base_22rocsparse_matrix_type_20rocsparse_fill_mode_23rocsparse_storage_mode_P22rocsparse_data_status_.has_recursion, 0
	.set _ZN9rocsparseL23check_matrix_csr_deviceILj256ELj64EdllEEvT3_S1_T2_PKT1_PKS2_PKS1_S9_21rocsparse_index_base_22rocsparse_matrix_type_20rocsparse_fill_mode_23rocsparse_storage_mode_P22rocsparse_data_status_.has_indirect_call, 0
	.section	.AMDGPU.csdata,"",@progbits
; Kernel info:
; codeLenInByte = 924
; TotalNumSgprs: 52
; NumVgprs: 25
; ScratchSize: 0
; MemoryBound: 0
; FloatMode: 240
; IeeeMode: 1
; LDSByteSize: 0 bytes/workgroup (compile time only)
; SGPRBlocks: 6
; VGPRBlocks: 6
; NumSGPRsForWavesPerEU: 52
; NumVGPRsForWavesPerEU: 25
; Occupancy: 9
; WaveLimiterHint : 0
; COMPUTE_PGM_RSRC2:SCRATCH_EN: 0
; COMPUTE_PGM_RSRC2:USER_SGPR: 6
; COMPUTE_PGM_RSRC2:TRAP_HANDLER: 0
; COMPUTE_PGM_RSRC2:TGID_X_EN: 1
; COMPUTE_PGM_RSRC2:TGID_Y_EN: 0
; COMPUTE_PGM_RSRC2:TGID_Z_EN: 0
; COMPUTE_PGM_RSRC2:TIDIG_COMP_CNT: 0
	.section	.text._ZN9rocsparseL23check_matrix_csr_deviceILj256ELj128EdllEEvT3_S1_T2_PKT1_PKS2_PKS1_S9_21rocsparse_index_base_22rocsparse_matrix_type_20rocsparse_fill_mode_23rocsparse_storage_mode_P22rocsparse_data_status_,"axG",@progbits,_ZN9rocsparseL23check_matrix_csr_deviceILj256ELj128EdllEEvT3_S1_T2_PKT1_PKS2_PKS1_S9_21rocsparse_index_base_22rocsparse_matrix_type_20rocsparse_fill_mode_23rocsparse_storage_mode_P22rocsparse_data_status_,comdat
	.globl	_ZN9rocsparseL23check_matrix_csr_deviceILj256ELj128EdllEEvT3_S1_T2_PKT1_PKS2_PKS1_S9_21rocsparse_index_base_22rocsparse_matrix_type_20rocsparse_fill_mode_23rocsparse_storage_mode_P22rocsparse_data_status_ ; -- Begin function _ZN9rocsparseL23check_matrix_csr_deviceILj256ELj128EdllEEvT3_S1_T2_PKT1_PKS2_PKS1_S9_21rocsparse_index_base_22rocsparse_matrix_type_20rocsparse_fill_mode_23rocsparse_storage_mode_P22rocsparse_data_status_
	.p2align	8
	.type	_ZN9rocsparseL23check_matrix_csr_deviceILj256ELj128EdllEEvT3_S1_T2_PKT1_PKS2_PKS1_S9_21rocsparse_index_base_22rocsparse_matrix_type_20rocsparse_fill_mode_23rocsparse_storage_mode_P22rocsparse_data_status_,@function
_ZN9rocsparseL23check_matrix_csr_deviceILj256ELj128EdllEEvT3_S1_T2_PKT1_PKS2_PKS1_S9_21rocsparse_index_base_22rocsparse_matrix_type_20rocsparse_fill_mode_23rocsparse_storage_mode_P22rocsparse_data_status_: ; @_ZN9rocsparseL23check_matrix_csr_deviceILj256ELj128EdllEEvT3_S1_T2_PKT1_PKS2_PKS1_S9_21rocsparse_index_base_22rocsparse_matrix_type_20rocsparse_fill_mode_23rocsparse_storage_mode_P22rocsparse_data_status_
; %bb.0:
	s_load_dwordx4 s[16:19], s[4:5], 0x0
	v_lshl_or_b32 v1, s6, 8, v0
	v_lshrrev_b32_e32 v1, 7, v1
	v_mov_b32_e32 v2, 0
	s_waitcnt lgkmcnt(0)
	v_cmp_gt_i64_e32 vcc, s[16:17], v[1:2]
	s_and_saveexec_b64 s[0:1], vcc
	s_cbranch_execz .LBB74_31
; %bb.1:
	s_load_dwordx2 s[0:1], s[4:5], 0x20
	v_lshlrev_b32_e32 v3, 3, v1
	v_mov_b32_e32 v21, 3
	s_mov_b64 s[10:11], -1
	s_mov_b64 s[8:9], 0
	s_waitcnt lgkmcnt(0)
	global_load_dwordx4 v[7:10], v3, s[0:1]
	s_load_dwordx2 s[0:1], s[0:1], 0x0
	s_waitcnt lgkmcnt(0)
	v_mov_b32_e32 v6, s1
	s_waitcnt vmcnt(0)
	v_subrev_co_u32_e32 v3, vcc, s0, v7
	v_subb_co_u32_e32 v4, vcc, v8, v6, vcc
	v_subrev_co_u32_e32 v5, vcc, s0, v9
	v_subb_co_u32_e32 v6, vcc, v10, v6, vcc
	v_cmp_gt_i64_e64 s[0:1], 0, v[5:6]
	v_cmp_lt_i64_e64 s[2:3], v[9:10], v[7:8]
	v_cmp_lt_i64_e32 vcc, -1, v[3:4]
	s_or_b64 s[0:1], s[0:1], s[2:3]
	s_xor_b64 s[0:1], s[0:1], -1
	s_and_b64 s[0:1], vcc, s[0:1]
	s_and_saveexec_b64 s[6:7], s[0:1]
	s_cbranch_execz .LBB74_29
; %bb.2:
	v_and_b32_e32 v0, 0x7f, v0
	v_add_co_u32_e32 v7, vcc, v3, v0
	v_addc_co_u32_e32 v8, vcc, 0, v4, vcc
	v_cmp_lt_u64_e32 vcc, v[7:8], v[5:6]
	v_mov_b32_e32 v21, 3
	s_and_saveexec_b64 s[16:17], vcc
	s_cbranch_execz .LBB74_28
; %bb.3:
	s_load_dwordx8 s[8:15], s[4:5], 0x28
	s_load_dwordx2 s[0:1], s[4:5], 0x18
	v_lshlrev_b64 v[13:14], 3, v[7:8]
                                        ; implicit-def: $sgpr24_sgpr25
                                        ; implicit-def: $sgpr26_sgpr27
                                        ; implicit-def: $sgpr28_sgpr29
	s_waitcnt lgkmcnt(0)
	v_mov_b32_e32 v0, s11
	v_add_co_u32_e32 v9, vcc, s10, v13
	v_addc_co_u32_e32 v0, vcc, v0, v14, vcc
	v_add_co_u32_e32 v9, vcc, -8, v9
	v_addc_co_u32_e32 v10, vcc, -1, v0, vcc
	s_cmp_lg_u32 s13, 0
	v_mov_b32_e32 v0, s1
	v_add_co_u32_e32 v11, vcc, s0, v13
	s_cselect_b64 s[20:21], -1, 0
	s_cmp_lg_u32 s14, 0
	v_addc_co_u32_e32 v12, vcc, v0, v14, vcc
	s_cselect_b64 s[22:23], -1, 0
	s_cmp_lg_u32 s15, 0
	v_mov_b32_e32 v0, s9
	v_add_co_u32_e32 v13, vcc, s8, v13
	s_mov_b32 s10, 0
	s_cselect_b64 s[14:15], -1, 0
	v_addc_co_u32_e32 v14, vcc, v0, v14, vcc
	s_mov_b32 s11, 0x7ff00000
	s_mov_b64 s[8:9], 0
	s_branch .LBB74_10
.LBB74_4:                               ;   in Loop: Header=BB74_10 Depth=1
	s_or_b64 exec, exec, s[0:1]
	s_orn2_b64 s[44:45], s[2:3], exec
	s_orn2_b64 s[0:1], s[40:41], exec
.LBB74_5:                               ;   in Loop: Header=BB74_10 Depth=1
	s_or_b64 exec, exec, s[42:43]
	s_orn2_b64 s[2:3], s[44:45], exec
	s_orn2_b64 s[0:1], s[0:1], exec
.LBB74_6:                               ;   in Loop: Header=BB74_10 Depth=1
	s_or_b64 exec, exec, s[38:39]
	s_orn2_b64 s[2:3], s[2:3], exec
	s_orn2_b64 s[0:1], s[0:1], exec
.LBB74_7:                               ;   in Loop: Header=BB74_10 Depth=1
	s_or_b64 exec, exec, s[36:37]
	s_orn2_b64 s[2:3], s[2:3], exec
	s_orn2_b64 s[0:1], s[0:1], exec
.LBB74_8:                               ;   in Loop: Header=BB74_10 Depth=1
	s_or_b64 exec, exec, s[34:35]
	s_andn2_b64 s[28:29], s[28:29], exec
	s_and_b64 s[2:3], s[2:3], exec
	s_or_b64 s[28:29], s[28:29], s[2:3]
	s_andn2_b64 s[2:3], s[26:27], exec
	s_and_b64 s[0:1], s[0:1], exec
	s_or_b64 s[26:27], s[2:3], s[0:1]
.LBB74_9:                               ;   in Loop: Header=BB74_10 Depth=1
	s_or_b64 exec, exec, s[30:31]
	s_and_b64 s[0:1], exec, s[26:27]
	s_or_b64 s[8:9], s[0:1], s[8:9]
	s_andn2_b64 s[0:1], s[24:25], exec
	s_and_b64 s[2:3], s[28:29], exec
	s_or_b64 s[24:25], s[0:1], s[2:3]
	s_andn2_b64 exec, exec, s[8:9]
	s_cbranch_execz .LBB74_27
.LBB74_10:                              ; =>This Inner Loop Header: Depth=1
	global_load_dwordx2 v[15:16], v[13:14], off
	v_mov_b32_e32 v21, 4
	s_or_b64 s[28:29], s[28:29], exec
	s_or_b64 s[26:27], s[26:27], exec
	s_waitcnt vmcnt(0)
	v_subrev_co_u32_e32 v17, vcc, s12, v15
	v_subbrev_co_u32_e32 v18, vcc, 0, v16, vcc
	v_cmp_lt_i64_e32 vcc, -1, v[17:18]
	v_cmp_gt_i64_e64 s[0:1], s[18:19], v[17:18]
	s_and_b64 s[0:1], vcc, s[0:1]
	s_and_saveexec_b64 s[30:31], s[0:1]
	s_cbranch_execz .LBB74_9
; %bb.11:                               ;   in Loop: Header=BB74_10 Depth=1
	v_cmp_le_i64_e64 s[40:41], v[7:8], v[3:4]
	v_cmp_gt_i64_e32 vcc, v[7:8], v[3:4]
	v_mov_b32_e32 v21, 4
	s_mov_b64 s[36:37], s[40:41]
	s_and_saveexec_b64 s[34:35], vcc
	s_cbranch_execz .LBB74_13
; %bb.12:                               ;   in Loop: Header=BB74_10 Depth=1
	global_load_dwordx4 v[19:22], v[9:10], off
	s_waitcnt vmcnt(0)
	v_subrev_co_u32_e32 v23, vcc, s12, v19
	v_subbrev_co_u32_e32 v24, vcc, 0, v20, vcc
	v_cmp_lt_i64_e64 s[0:1], -1, v[23:24]
	v_cmp_gt_i64_e64 s[2:3], s[18:19], v[23:24]
	v_cmp_ne_u64_e32 vcc, v[21:22], v[19:20]
	s_and_b64 s[0:1], s[0:1], s[2:3]
	s_xor_b64 s[0:1], s[0:1], -1
	s_or_b64 s[0:1], vcc, s[0:1]
	s_andn2_b64 s[2:3], s[40:41], exec
	s_and_b64 s[0:1], s[0:1], exec
	v_mov_b32_e32 v21, 5
	s_or_b64 s[36:37], s[2:3], s[0:1]
.LBB74_13:                              ;   in Loop: Header=BB74_10 Depth=1
	s_or_b64 exec, exec, s[34:35]
	s_mov_b64 s[0:1], -1
	s_mov_b64 s[2:3], -1
	s_and_saveexec_b64 s[34:35], s[36:37]
	s_cbranch_execz .LBB74_8
; %bb.14:                               ;   in Loop: Header=BB74_10 Depth=1
	global_load_dwordx2 v[19:20], v[11:12], off
	v_mov_b32_e32 v21, 1
	s_waitcnt vmcnt(0)
	v_cmp_neq_f64_e32 vcc, s[10:11], v[19:20]
	s_and_saveexec_b64 s[36:37], vcc
	s_cbranch_execz .LBB74_7
; %bb.15:                               ;   in Loop: Header=BB74_10 Depth=1
	v_cmp_o_f64_e32 vcc, v[19:20], v[19:20]
	v_mov_b32_e32 v21, 2
	s_and_saveexec_b64 s[38:39], vcc
	s_cbranch_execz .LBB74_6
; %bb.16:                               ;   in Loop: Header=BB74_10 Depth=1
	s_and_b64 vcc, exec, s[20:21]
	s_cbranch_vccz .LBB74_19
; %bb.17:                               ;   in Loop: Header=BB74_10 Depth=1
	s_and_b64 vcc, exec, s[22:23]
	s_cbranch_vccz .LBB74_20
; %bb.18:                               ;   in Loop: Header=BB74_10 Depth=1
	v_cmp_ge_i64_e32 vcc, v[17:18], v[1:2]
	s_mov_b32 s13, 7
	s_and_b64 s[2:3], vcc, exec
	s_cbranch_execz .LBB74_21
	s_branch .LBB74_22
.LBB74_19:                              ;   in Loop: Header=BB74_10 Depth=1
	s_mov_b32 s13, 2
	s_branch .LBB74_22
.LBB74_20:                              ;   in Loop: Header=BB74_10 Depth=1
	s_mov_b64 s[2:3], 0
	s_mov_b32 s13, 2
.LBB74_21:                              ;   in Loop: Header=BB74_10 Depth=1
	v_cmp_le_i64_e32 vcc, v[17:18], v[1:2]
	s_andn2_b64 s[2:3], s[2:3], exec
	s_and_b64 s[42:43], vcc, exec
	s_mov_b32 s13, 7
	s_or_b64 s[2:3], s[2:3], s[42:43]
.LBB74_22:                              ;   in Loop: Header=BB74_10 Depth=1
	v_mov_b32_e32 v21, s13
	s_mov_b64 s[44:45], -1
	s_and_saveexec_b64 s[42:43], s[2:3]
	s_cbranch_execz .LBB74_5
; %bb.23:                               ;   in Loop: Header=BB74_10 Depth=1
	s_nor_b64 s[0:1], s[14:15], s[40:41]
	s_mov_b64 s[40:41], -1
	v_mov_b32_e32 v21, s13
	s_mov_b64 s[46:47], -1
	s_and_saveexec_b64 s[44:45], s[0:1]
	s_cbranch_execz .LBB74_25
; %bb.24:                               ;   in Loop: Header=BB74_10 Depth=1
	global_load_dwordx2 v[17:18], v[13:14], off offset:-8
	v_mov_b32_e32 v21, 6
	s_waitcnt vmcnt(0)
	v_subrev_co_u32_e32 v19, vcc, s12, v17
	v_subbrev_co_u32_e32 v20, vcc, 0, v18, vcc
	v_cmp_lt_i64_e32 vcc, -1, v[19:20]
	v_cmp_gt_i64_e64 s[0:1], s[18:19], v[19:20]
	v_cmp_gt_i64_e64 s[2:3], v[15:16], v[17:18]
	s_and_b64 s[0:1], vcc, s[0:1]
	s_xor_b64 s[0:1], s[0:1], -1
	s_or_b64 s[0:1], s[2:3], s[0:1]
	s_orn2_b64 s[46:47], s[0:1], exec
.LBB74_25:                              ;   in Loop: Header=BB74_10 Depth=1
	s_or_b64 exec, exec, s[44:45]
	s_mov_b64 s[2:3], -1
	s_and_saveexec_b64 s[0:1], s[46:47]
	s_cbranch_execz .LBB74_4
; %bb.26:                               ;   in Loop: Header=BB74_10 Depth=1
	v_add_co_u32_e32 v7, vcc, 0x80, v7
	v_addc_co_u32_e32 v8, vcc, 0, v8, vcc
	v_add_co_u32_e32 v9, vcc, 0x400, v9
	v_addc_co_u32_e32 v10, vcc, 0, v10, vcc
	;; [unrolled: 2-line block ×4, first 2 shown]
	v_cmp_ge_i64_e32 vcc, v[7:8], v[5:6]
	s_xor_b64 s[2:3], exec, -1
	s_orn2_b64 s[40:41], vcc, exec
	s_branch .LBB74_4
.LBB74_27:
	s_or_b64 exec, exec, s[8:9]
	s_and_b64 s[8:9], s[24:25], exec
.LBB74_28:
	s_or_b64 exec, exec, s[16:17]
	s_orn2_b64 s[10:11], s[8:9], exec
.LBB74_29:
	s_or_b64 exec, exec, s[6:7]
	s_and_b64 exec, exec, s[10:11]
	s_cbranch_execz .LBB74_31
; %bb.30:
	s_load_dwordx2 s[0:1], s[4:5], 0x48
	v_mov_b32_e32 v0, 0
	s_waitcnt lgkmcnt(0)
	global_store_dword v0, v21, s[0:1]
.LBB74_31:
	s_endpgm
	.section	.rodata,"a",@progbits
	.p2align	6, 0x0
	.amdhsa_kernel _ZN9rocsparseL23check_matrix_csr_deviceILj256ELj128EdllEEvT3_S1_T2_PKT1_PKS2_PKS1_S9_21rocsparse_index_base_22rocsparse_matrix_type_20rocsparse_fill_mode_23rocsparse_storage_mode_P22rocsparse_data_status_
		.amdhsa_group_segment_fixed_size 0
		.amdhsa_private_segment_fixed_size 0
		.amdhsa_kernarg_size 80
		.amdhsa_user_sgpr_count 6
		.amdhsa_user_sgpr_private_segment_buffer 1
		.amdhsa_user_sgpr_dispatch_ptr 0
		.amdhsa_user_sgpr_queue_ptr 0
		.amdhsa_user_sgpr_kernarg_segment_ptr 1
		.amdhsa_user_sgpr_dispatch_id 0
		.amdhsa_user_sgpr_flat_scratch_init 0
		.amdhsa_user_sgpr_private_segment_size 0
		.amdhsa_uses_dynamic_stack 0
		.amdhsa_system_sgpr_private_segment_wavefront_offset 0
		.amdhsa_system_sgpr_workgroup_id_x 1
		.amdhsa_system_sgpr_workgroup_id_y 0
		.amdhsa_system_sgpr_workgroup_id_z 0
		.amdhsa_system_sgpr_workgroup_info 0
		.amdhsa_system_vgpr_workitem_id 0
		.amdhsa_next_free_vgpr 25
		.amdhsa_next_free_sgpr 48
		.amdhsa_reserve_vcc 1
		.amdhsa_reserve_flat_scratch 0
		.amdhsa_float_round_mode_32 0
		.amdhsa_float_round_mode_16_64 0
		.amdhsa_float_denorm_mode_32 3
		.amdhsa_float_denorm_mode_16_64 3
		.amdhsa_dx10_clamp 1
		.amdhsa_ieee_mode 1
		.amdhsa_fp16_overflow 0
		.amdhsa_exception_fp_ieee_invalid_op 0
		.amdhsa_exception_fp_denorm_src 0
		.amdhsa_exception_fp_ieee_div_zero 0
		.amdhsa_exception_fp_ieee_overflow 0
		.amdhsa_exception_fp_ieee_underflow 0
		.amdhsa_exception_fp_ieee_inexact 0
		.amdhsa_exception_int_div_zero 0
	.end_amdhsa_kernel
	.section	.text._ZN9rocsparseL23check_matrix_csr_deviceILj256ELj128EdllEEvT3_S1_T2_PKT1_PKS2_PKS1_S9_21rocsparse_index_base_22rocsparse_matrix_type_20rocsparse_fill_mode_23rocsparse_storage_mode_P22rocsparse_data_status_,"axG",@progbits,_ZN9rocsparseL23check_matrix_csr_deviceILj256ELj128EdllEEvT3_S1_T2_PKT1_PKS2_PKS1_S9_21rocsparse_index_base_22rocsparse_matrix_type_20rocsparse_fill_mode_23rocsparse_storage_mode_P22rocsparse_data_status_,comdat
.Lfunc_end74:
	.size	_ZN9rocsparseL23check_matrix_csr_deviceILj256ELj128EdllEEvT3_S1_T2_PKT1_PKS2_PKS1_S9_21rocsparse_index_base_22rocsparse_matrix_type_20rocsparse_fill_mode_23rocsparse_storage_mode_P22rocsparse_data_status_, .Lfunc_end74-_ZN9rocsparseL23check_matrix_csr_deviceILj256ELj128EdllEEvT3_S1_T2_PKT1_PKS2_PKS1_S9_21rocsparse_index_base_22rocsparse_matrix_type_20rocsparse_fill_mode_23rocsparse_storage_mode_P22rocsparse_data_status_
                                        ; -- End function
	.set _ZN9rocsparseL23check_matrix_csr_deviceILj256ELj128EdllEEvT3_S1_T2_PKT1_PKS2_PKS1_S9_21rocsparse_index_base_22rocsparse_matrix_type_20rocsparse_fill_mode_23rocsparse_storage_mode_P22rocsparse_data_status_.num_vgpr, 25
	.set _ZN9rocsparseL23check_matrix_csr_deviceILj256ELj128EdllEEvT3_S1_T2_PKT1_PKS2_PKS1_S9_21rocsparse_index_base_22rocsparse_matrix_type_20rocsparse_fill_mode_23rocsparse_storage_mode_P22rocsparse_data_status_.num_agpr, 0
	.set _ZN9rocsparseL23check_matrix_csr_deviceILj256ELj128EdllEEvT3_S1_T2_PKT1_PKS2_PKS1_S9_21rocsparse_index_base_22rocsparse_matrix_type_20rocsparse_fill_mode_23rocsparse_storage_mode_P22rocsparse_data_status_.numbered_sgpr, 48
	.set _ZN9rocsparseL23check_matrix_csr_deviceILj256ELj128EdllEEvT3_S1_T2_PKT1_PKS2_PKS1_S9_21rocsparse_index_base_22rocsparse_matrix_type_20rocsparse_fill_mode_23rocsparse_storage_mode_P22rocsparse_data_status_.num_named_barrier, 0
	.set _ZN9rocsparseL23check_matrix_csr_deviceILj256ELj128EdllEEvT3_S1_T2_PKT1_PKS2_PKS1_S9_21rocsparse_index_base_22rocsparse_matrix_type_20rocsparse_fill_mode_23rocsparse_storage_mode_P22rocsparse_data_status_.private_seg_size, 0
	.set _ZN9rocsparseL23check_matrix_csr_deviceILj256ELj128EdllEEvT3_S1_T2_PKT1_PKS2_PKS1_S9_21rocsparse_index_base_22rocsparse_matrix_type_20rocsparse_fill_mode_23rocsparse_storage_mode_P22rocsparse_data_status_.uses_vcc, 1
	.set _ZN9rocsparseL23check_matrix_csr_deviceILj256ELj128EdllEEvT3_S1_T2_PKT1_PKS2_PKS1_S9_21rocsparse_index_base_22rocsparse_matrix_type_20rocsparse_fill_mode_23rocsparse_storage_mode_P22rocsparse_data_status_.uses_flat_scratch, 0
	.set _ZN9rocsparseL23check_matrix_csr_deviceILj256ELj128EdllEEvT3_S1_T2_PKT1_PKS2_PKS1_S9_21rocsparse_index_base_22rocsparse_matrix_type_20rocsparse_fill_mode_23rocsparse_storage_mode_P22rocsparse_data_status_.has_dyn_sized_stack, 0
	.set _ZN9rocsparseL23check_matrix_csr_deviceILj256ELj128EdllEEvT3_S1_T2_PKT1_PKS2_PKS1_S9_21rocsparse_index_base_22rocsparse_matrix_type_20rocsparse_fill_mode_23rocsparse_storage_mode_P22rocsparse_data_status_.has_recursion, 0
	.set _ZN9rocsparseL23check_matrix_csr_deviceILj256ELj128EdllEEvT3_S1_T2_PKT1_PKS2_PKS1_S9_21rocsparse_index_base_22rocsparse_matrix_type_20rocsparse_fill_mode_23rocsparse_storage_mode_P22rocsparse_data_status_.has_indirect_call, 0
	.section	.AMDGPU.csdata,"",@progbits
; Kernel info:
; codeLenInByte = 932
; TotalNumSgprs: 52
; NumVgprs: 25
; ScratchSize: 0
; MemoryBound: 0
; FloatMode: 240
; IeeeMode: 1
; LDSByteSize: 0 bytes/workgroup (compile time only)
; SGPRBlocks: 6
; VGPRBlocks: 6
; NumSGPRsForWavesPerEU: 52
; NumVGPRsForWavesPerEU: 25
; Occupancy: 9
; WaveLimiterHint : 0
; COMPUTE_PGM_RSRC2:SCRATCH_EN: 0
; COMPUTE_PGM_RSRC2:USER_SGPR: 6
; COMPUTE_PGM_RSRC2:TRAP_HANDLER: 0
; COMPUTE_PGM_RSRC2:TGID_X_EN: 1
; COMPUTE_PGM_RSRC2:TGID_Y_EN: 0
; COMPUTE_PGM_RSRC2:TGID_Z_EN: 0
; COMPUTE_PGM_RSRC2:TIDIG_COMP_CNT: 0
	.section	.text._ZN9rocsparseL23check_matrix_csr_deviceILj256ELj256EdllEEvT3_S1_T2_PKT1_PKS2_PKS1_S9_21rocsparse_index_base_22rocsparse_matrix_type_20rocsparse_fill_mode_23rocsparse_storage_mode_P22rocsparse_data_status_,"axG",@progbits,_ZN9rocsparseL23check_matrix_csr_deviceILj256ELj256EdllEEvT3_S1_T2_PKT1_PKS2_PKS1_S9_21rocsparse_index_base_22rocsparse_matrix_type_20rocsparse_fill_mode_23rocsparse_storage_mode_P22rocsparse_data_status_,comdat
	.globl	_ZN9rocsparseL23check_matrix_csr_deviceILj256ELj256EdllEEvT3_S1_T2_PKT1_PKS2_PKS1_S9_21rocsparse_index_base_22rocsparse_matrix_type_20rocsparse_fill_mode_23rocsparse_storage_mode_P22rocsparse_data_status_ ; -- Begin function _ZN9rocsparseL23check_matrix_csr_deviceILj256ELj256EdllEEvT3_S1_T2_PKT1_PKS2_PKS1_S9_21rocsparse_index_base_22rocsparse_matrix_type_20rocsparse_fill_mode_23rocsparse_storage_mode_P22rocsparse_data_status_
	.p2align	8
	.type	_ZN9rocsparseL23check_matrix_csr_deviceILj256ELj256EdllEEvT3_S1_T2_PKT1_PKS2_PKS1_S9_21rocsparse_index_base_22rocsparse_matrix_type_20rocsparse_fill_mode_23rocsparse_storage_mode_P22rocsparse_data_status_,@function
_ZN9rocsparseL23check_matrix_csr_deviceILj256ELj256EdllEEvT3_S1_T2_PKT1_PKS2_PKS1_S9_21rocsparse_index_base_22rocsparse_matrix_type_20rocsparse_fill_mode_23rocsparse_storage_mode_P22rocsparse_data_status_: ; @_ZN9rocsparseL23check_matrix_csr_deviceILj256ELj256EdllEEvT3_S1_T2_PKT1_PKS2_PKS1_S9_21rocsparse_index_base_22rocsparse_matrix_type_20rocsparse_fill_mode_23rocsparse_storage_mode_P22rocsparse_data_status_
; %bb.0:
	s_load_dwordx4 s[16:19], s[4:5], 0x0
	s_and_b32 s6, s6, 0xffffff
	s_mov_b32 s7, 0
	v_mov_b32_e32 v1, s6
	v_mov_b32_e32 v2, s7
	s_waitcnt lgkmcnt(0)
	v_cmp_gt_i64_e32 vcc, s[16:17], v[1:2]
	s_and_saveexec_b64 s[0:1], vcc
	s_cbranch_execz .LBB75_31
; %bb.1:
	s_load_dwordx2 s[0:1], s[4:5], 0x20
	v_mov_b32_e32 v1, s6
	v_lshlrev_b32_e32 v1, 3, v1
	v_mov_b32_e32 v2, s7
	v_mov_b32_e32 v19, 3
	s_waitcnt lgkmcnt(0)
	global_load_dwordx4 v[5:8], v1, s[0:1]
	s_load_dwordx2 s[0:1], s[0:1], 0x0
	s_mov_b64 s[10:11], -1
	s_mov_b64 s[8:9], 0
	s_waitcnt lgkmcnt(0)
	v_mov_b32_e32 v4, s1
	s_waitcnt vmcnt(0)
	v_subrev_co_u32_e32 v1, vcc, s0, v5
	v_subb_co_u32_e32 v2, vcc, v6, v4, vcc
	v_subrev_co_u32_e32 v3, vcc, s0, v7
	v_subb_co_u32_e32 v4, vcc, v8, v4, vcc
	v_cmp_gt_i64_e64 s[0:1], 0, v[3:4]
	v_cmp_lt_i64_e64 s[2:3], v[7:8], v[5:6]
	v_cmp_lt_i64_e32 vcc, -1, v[1:2]
	s_or_b64 s[0:1], s[0:1], s[2:3]
	s_xor_b64 s[0:1], s[0:1], -1
	s_and_b64 s[0:1], vcc, s[0:1]
	s_and_saveexec_b64 s[16:17], s[0:1]
	s_cbranch_execz .LBB75_29
; %bb.2:
	v_add_co_u32_e32 v5, vcc, v1, v0
	v_addc_co_u32_e32 v6, vcc, 0, v2, vcc
	v_cmp_lt_u64_e32 vcc, v[5:6], v[3:4]
	v_mov_b32_e32 v19, 3
	s_and_saveexec_b64 s[20:21], vcc
	s_cbranch_execz .LBB75_28
; %bb.3:
	s_load_dwordx8 s[8:15], s[4:5], 0x28
	s_load_dwordx2 s[0:1], s[4:5], 0x18
	v_lshlrev_b64 v[11:12], 3, v[5:6]
                                        ; implicit-def: $sgpr26_sgpr27
                                        ; implicit-def: $sgpr28_sgpr29
                                        ; implicit-def: $sgpr30_sgpr31
	s_waitcnt lgkmcnt(0)
	v_mov_b32_e32 v0, s11
	v_add_co_u32_e32 v7, vcc, s10, v11
	v_addc_co_u32_e32 v0, vcc, v0, v12, vcc
	v_add_co_u32_e32 v7, vcc, -8, v7
	v_addc_co_u32_e32 v8, vcc, -1, v0, vcc
	s_cmp_lg_u32 s13, 0
	v_mov_b32_e32 v0, s1
	v_add_co_u32_e32 v9, vcc, s0, v11
	s_cselect_b64 s[22:23], -1, 0
	s_cmp_lg_u32 s14, 0
	v_addc_co_u32_e32 v10, vcc, v0, v12, vcc
	s_cselect_b64 s[24:25], -1, 0
	s_cmp_lg_u32 s15, 0
	v_mov_b32_e32 v0, s9
	v_add_co_u32_e32 v11, vcc, s8, v11
	s_mov_b32 s10, 0
	s_cselect_b64 s[14:15], -1, 0
	v_addc_co_u32_e32 v12, vcc, v0, v12, vcc
	s_mov_b32 s11, 0x7ff00000
	s_mov_b64 s[8:9], 0
	s_branch .LBB75_10
.LBB75_4:                               ;   in Loop: Header=BB75_10 Depth=1
	s_or_b64 exec, exec, s[0:1]
	s_orn2_b64 s[46:47], s[2:3], exec
	s_orn2_b64 s[0:1], s[42:43], exec
.LBB75_5:                               ;   in Loop: Header=BB75_10 Depth=1
	s_or_b64 exec, exec, s[44:45]
	s_orn2_b64 s[2:3], s[46:47], exec
	s_orn2_b64 s[0:1], s[0:1], exec
.LBB75_6:                               ;   in Loop: Header=BB75_10 Depth=1
	s_or_b64 exec, exec, s[40:41]
	s_orn2_b64 s[2:3], s[2:3], exec
	s_orn2_b64 s[0:1], s[0:1], exec
.LBB75_7:                               ;   in Loop: Header=BB75_10 Depth=1
	s_or_b64 exec, exec, s[38:39]
	s_orn2_b64 s[2:3], s[2:3], exec
	s_orn2_b64 s[0:1], s[0:1], exec
.LBB75_8:                               ;   in Loop: Header=BB75_10 Depth=1
	s_or_b64 exec, exec, s[36:37]
	s_andn2_b64 s[30:31], s[30:31], exec
	s_and_b64 s[2:3], s[2:3], exec
	s_or_b64 s[30:31], s[30:31], s[2:3]
	s_andn2_b64 s[2:3], s[28:29], exec
	s_and_b64 s[0:1], s[0:1], exec
	s_or_b64 s[28:29], s[2:3], s[0:1]
.LBB75_9:                               ;   in Loop: Header=BB75_10 Depth=1
	s_or_b64 exec, exec, s[34:35]
	s_and_b64 s[0:1], exec, s[28:29]
	s_or_b64 s[8:9], s[0:1], s[8:9]
	s_andn2_b64 s[0:1], s[26:27], exec
	s_and_b64 s[2:3], s[30:31], exec
	s_or_b64 s[26:27], s[0:1], s[2:3]
	s_andn2_b64 exec, exec, s[8:9]
	s_cbranch_execz .LBB75_27
.LBB75_10:                              ; =>This Inner Loop Header: Depth=1
	global_load_dwordx2 v[13:14], v[11:12], off
	v_mov_b32_e32 v19, 4
	s_or_b64 s[30:31], s[30:31], exec
	s_or_b64 s[28:29], s[28:29], exec
	s_waitcnt vmcnt(0)
	v_subrev_co_u32_e32 v15, vcc, s12, v13
	v_subbrev_co_u32_e32 v16, vcc, 0, v14, vcc
	v_cmp_lt_i64_e32 vcc, -1, v[15:16]
	v_cmp_gt_i64_e64 s[0:1], s[18:19], v[15:16]
	s_and_b64 s[0:1], vcc, s[0:1]
	s_and_saveexec_b64 s[34:35], s[0:1]
	s_cbranch_execz .LBB75_9
; %bb.11:                               ;   in Loop: Header=BB75_10 Depth=1
	v_cmp_le_i64_e64 s[42:43], v[5:6], v[1:2]
	v_cmp_gt_i64_e32 vcc, v[5:6], v[1:2]
	v_mov_b32_e32 v19, 4
	s_mov_b64 s[38:39], s[42:43]
	s_and_saveexec_b64 s[36:37], vcc
	s_cbranch_execz .LBB75_13
; %bb.12:                               ;   in Loop: Header=BB75_10 Depth=1
	global_load_dwordx4 v[20:23], v[7:8], off
	v_mov_b32_e32 v19, 5
	s_waitcnt vmcnt(0)
	v_subrev_co_u32_e32 v17, vcc, s12, v20
	v_subbrev_co_u32_e32 v18, vcc, 0, v21, vcc
	v_cmp_lt_i64_e32 vcc, -1, v[17:18]
	v_cmp_gt_i64_e64 s[0:1], s[18:19], v[17:18]
	v_cmp_ne_u64_e64 s[2:3], v[22:23], v[20:21]
	s_and_b64 s[0:1], vcc, s[0:1]
	s_xor_b64 s[0:1], s[0:1], -1
	s_or_b64 s[0:1], s[2:3], s[0:1]
	s_andn2_b64 s[2:3], s[42:43], exec
	s_and_b64 s[0:1], s[0:1], exec
	s_or_b64 s[38:39], s[2:3], s[0:1]
.LBB75_13:                              ;   in Loop: Header=BB75_10 Depth=1
	s_or_b64 exec, exec, s[36:37]
	s_mov_b64 s[0:1], -1
	s_mov_b64 s[2:3], -1
	s_and_saveexec_b64 s[36:37], s[38:39]
	s_cbranch_execz .LBB75_8
; %bb.14:                               ;   in Loop: Header=BB75_10 Depth=1
	global_load_dwordx2 v[17:18], v[9:10], off
	v_mov_b32_e32 v19, 1
	s_waitcnt vmcnt(0)
	v_cmp_neq_f64_e32 vcc, s[10:11], v[17:18]
	s_and_saveexec_b64 s[38:39], vcc
	s_cbranch_execz .LBB75_7
; %bb.15:                               ;   in Loop: Header=BB75_10 Depth=1
	v_cmp_o_f64_e32 vcc, v[17:18], v[17:18]
	v_mov_b32_e32 v19, 2
	s_and_saveexec_b64 s[40:41], vcc
	s_cbranch_execz .LBB75_6
; %bb.16:                               ;   in Loop: Header=BB75_10 Depth=1
	s_and_b64 vcc, exec, s[22:23]
	s_cbranch_vccz .LBB75_19
; %bb.17:                               ;   in Loop: Header=BB75_10 Depth=1
	s_and_b64 vcc, exec, s[24:25]
	s_cbranch_vccz .LBB75_20
; %bb.18:                               ;   in Loop: Header=BB75_10 Depth=1
	v_cmp_le_i64_e32 vcc, s[6:7], v[15:16]
	s_mov_b32 s13, 7
	s_and_b64 s[2:3], vcc, exec
	s_cbranch_execz .LBB75_21
	s_branch .LBB75_22
.LBB75_19:                              ;   in Loop: Header=BB75_10 Depth=1
	s_mov_b32 s13, 2
	s_branch .LBB75_22
.LBB75_20:                              ;   in Loop: Header=BB75_10 Depth=1
	s_mov_b64 s[2:3], 0
	s_mov_b32 s13, 2
.LBB75_21:                              ;   in Loop: Header=BB75_10 Depth=1
	v_cmp_ge_i64_e32 vcc, s[6:7], v[15:16]
	s_andn2_b64 s[2:3], s[2:3], exec
	s_and_b64 s[44:45], vcc, exec
	s_mov_b32 s13, 7
	s_or_b64 s[2:3], s[2:3], s[44:45]
.LBB75_22:                              ;   in Loop: Header=BB75_10 Depth=1
	v_mov_b32_e32 v19, s13
	s_mov_b64 s[46:47], -1
	s_and_saveexec_b64 s[44:45], s[2:3]
	s_cbranch_execz .LBB75_5
; %bb.23:                               ;   in Loop: Header=BB75_10 Depth=1
	s_nor_b64 s[0:1], s[14:15], s[42:43]
	s_mov_b64 s[42:43], -1
	v_mov_b32_e32 v19, s13
	s_mov_b64 s[48:49], -1
	s_and_saveexec_b64 s[46:47], s[0:1]
	s_cbranch_execz .LBB75_25
; %bb.24:                               ;   in Loop: Header=BB75_10 Depth=1
	global_load_dwordx2 v[15:16], v[11:12], off offset:-8
	v_mov_b32_e32 v19, 6
	s_waitcnt vmcnt(0)
	v_subrev_co_u32_e32 v17, vcc, s12, v15
	v_subbrev_co_u32_e32 v18, vcc, 0, v16, vcc
	v_cmp_lt_i64_e32 vcc, -1, v[17:18]
	v_cmp_gt_i64_e64 s[0:1], s[18:19], v[17:18]
	v_cmp_gt_i64_e64 s[2:3], v[13:14], v[15:16]
	s_and_b64 s[0:1], vcc, s[0:1]
	s_xor_b64 s[0:1], s[0:1], -1
	s_or_b64 s[0:1], s[2:3], s[0:1]
	s_orn2_b64 s[48:49], s[0:1], exec
.LBB75_25:                              ;   in Loop: Header=BB75_10 Depth=1
	s_or_b64 exec, exec, s[46:47]
	s_mov_b64 s[2:3], -1
	s_and_saveexec_b64 s[0:1], s[48:49]
	s_cbranch_execz .LBB75_4
; %bb.26:                               ;   in Loop: Header=BB75_10 Depth=1
	v_add_co_u32_e32 v5, vcc, 0x100, v5
	v_addc_co_u32_e32 v6, vcc, 0, v6, vcc
	v_add_co_u32_e32 v7, vcc, 0x800, v7
	v_addc_co_u32_e32 v8, vcc, 0, v8, vcc
	;; [unrolled: 2-line block ×4, first 2 shown]
	v_cmp_ge_i64_e32 vcc, v[5:6], v[3:4]
	s_xor_b64 s[2:3], exec, -1
	s_orn2_b64 s[42:43], vcc, exec
	s_branch .LBB75_4
.LBB75_27:
	s_or_b64 exec, exec, s[8:9]
	s_and_b64 s[8:9], s[26:27], exec
.LBB75_28:
	s_or_b64 exec, exec, s[20:21]
	s_orn2_b64 s[10:11], s[8:9], exec
.LBB75_29:
	s_or_b64 exec, exec, s[16:17]
	s_and_b64 exec, exec, s[10:11]
	s_cbranch_execz .LBB75_31
; %bb.30:
	s_load_dwordx2 s[0:1], s[4:5], 0x48
	v_mov_b32_e32 v0, 0
	s_waitcnt lgkmcnt(0)
	global_store_dword v0, v19, s[0:1]
.LBB75_31:
	s_endpgm
	.section	.rodata,"a",@progbits
	.p2align	6, 0x0
	.amdhsa_kernel _ZN9rocsparseL23check_matrix_csr_deviceILj256ELj256EdllEEvT3_S1_T2_PKT1_PKS2_PKS1_S9_21rocsparse_index_base_22rocsparse_matrix_type_20rocsparse_fill_mode_23rocsparse_storage_mode_P22rocsparse_data_status_
		.amdhsa_group_segment_fixed_size 0
		.amdhsa_private_segment_fixed_size 0
		.amdhsa_kernarg_size 80
		.amdhsa_user_sgpr_count 6
		.amdhsa_user_sgpr_private_segment_buffer 1
		.amdhsa_user_sgpr_dispatch_ptr 0
		.amdhsa_user_sgpr_queue_ptr 0
		.amdhsa_user_sgpr_kernarg_segment_ptr 1
		.amdhsa_user_sgpr_dispatch_id 0
		.amdhsa_user_sgpr_flat_scratch_init 0
		.amdhsa_user_sgpr_private_segment_size 0
		.amdhsa_uses_dynamic_stack 0
		.amdhsa_system_sgpr_private_segment_wavefront_offset 0
		.amdhsa_system_sgpr_workgroup_id_x 1
		.amdhsa_system_sgpr_workgroup_id_y 0
		.amdhsa_system_sgpr_workgroup_id_z 0
		.amdhsa_system_sgpr_workgroup_info 0
		.amdhsa_system_vgpr_workitem_id 0
		.amdhsa_next_free_vgpr 24
		.amdhsa_next_free_sgpr 50
		.amdhsa_reserve_vcc 1
		.amdhsa_reserve_flat_scratch 0
		.amdhsa_float_round_mode_32 0
		.amdhsa_float_round_mode_16_64 0
		.amdhsa_float_denorm_mode_32 3
		.amdhsa_float_denorm_mode_16_64 3
		.amdhsa_dx10_clamp 1
		.amdhsa_ieee_mode 1
		.amdhsa_fp16_overflow 0
		.amdhsa_exception_fp_ieee_invalid_op 0
		.amdhsa_exception_fp_denorm_src 0
		.amdhsa_exception_fp_ieee_div_zero 0
		.amdhsa_exception_fp_ieee_overflow 0
		.amdhsa_exception_fp_ieee_underflow 0
		.amdhsa_exception_fp_ieee_inexact 0
		.amdhsa_exception_int_div_zero 0
	.end_amdhsa_kernel
	.section	.text._ZN9rocsparseL23check_matrix_csr_deviceILj256ELj256EdllEEvT3_S1_T2_PKT1_PKS2_PKS1_S9_21rocsparse_index_base_22rocsparse_matrix_type_20rocsparse_fill_mode_23rocsparse_storage_mode_P22rocsparse_data_status_,"axG",@progbits,_ZN9rocsparseL23check_matrix_csr_deviceILj256ELj256EdllEEvT3_S1_T2_PKT1_PKS2_PKS1_S9_21rocsparse_index_base_22rocsparse_matrix_type_20rocsparse_fill_mode_23rocsparse_storage_mode_P22rocsparse_data_status_,comdat
.Lfunc_end75:
	.size	_ZN9rocsparseL23check_matrix_csr_deviceILj256ELj256EdllEEvT3_S1_T2_PKT1_PKS2_PKS1_S9_21rocsparse_index_base_22rocsparse_matrix_type_20rocsparse_fill_mode_23rocsparse_storage_mode_P22rocsparse_data_status_, .Lfunc_end75-_ZN9rocsparseL23check_matrix_csr_deviceILj256ELj256EdllEEvT3_S1_T2_PKT1_PKS2_PKS1_S9_21rocsparse_index_base_22rocsparse_matrix_type_20rocsparse_fill_mode_23rocsparse_storage_mode_P22rocsparse_data_status_
                                        ; -- End function
	.set _ZN9rocsparseL23check_matrix_csr_deviceILj256ELj256EdllEEvT3_S1_T2_PKT1_PKS2_PKS1_S9_21rocsparse_index_base_22rocsparse_matrix_type_20rocsparse_fill_mode_23rocsparse_storage_mode_P22rocsparse_data_status_.num_vgpr, 24
	.set _ZN9rocsparseL23check_matrix_csr_deviceILj256ELj256EdllEEvT3_S1_T2_PKT1_PKS2_PKS1_S9_21rocsparse_index_base_22rocsparse_matrix_type_20rocsparse_fill_mode_23rocsparse_storage_mode_P22rocsparse_data_status_.num_agpr, 0
	.set _ZN9rocsparseL23check_matrix_csr_deviceILj256ELj256EdllEEvT3_S1_T2_PKT1_PKS2_PKS1_S9_21rocsparse_index_base_22rocsparse_matrix_type_20rocsparse_fill_mode_23rocsparse_storage_mode_P22rocsparse_data_status_.numbered_sgpr, 50
	.set _ZN9rocsparseL23check_matrix_csr_deviceILj256ELj256EdllEEvT3_S1_T2_PKT1_PKS2_PKS1_S9_21rocsparse_index_base_22rocsparse_matrix_type_20rocsparse_fill_mode_23rocsparse_storage_mode_P22rocsparse_data_status_.num_named_barrier, 0
	.set _ZN9rocsparseL23check_matrix_csr_deviceILj256ELj256EdllEEvT3_S1_T2_PKT1_PKS2_PKS1_S9_21rocsparse_index_base_22rocsparse_matrix_type_20rocsparse_fill_mode_23rocsparse_storage_mode_P22rocsparse_data_status_.private_seg_size, 0
	.set _ZN9rocsparseL23check_matrix_csr_deviceILj256ELj256EdllEEvT3_S1_T2_PKT1_PKS2_PKS1_S9_21rocsparse_index_base_22rocsparse_matrix_type_20rocsparse_fill_mode_23rocsparse_storage_mode_P22rocsparse_data_status_.uses_vcc, 1
	.set _ZN9rocsparseL23check_matrix_csr_deviceILj256ELj256EdllEEvT3_S1_T2_PKT1_PKS2_PKS1_S9_21rocsparse_index_base_22rocsparse_matrix_type_20rocsparse_fill_mode_23rocsparse_storage_mode_P22rocsparse_data_status_.uses_flat_scratch, 0
	.set _ZN9rocsparseL23check_matrix_csr_deviceILj256ELj256EdllEEvT3_S1_T2_PKT1_PKS2_PKS1_S9_21rocsparse_index_base_22rocsparse_matrix_type_20rocsparse_fill_mode_23rocsparse_storage_mode_P22rocsparse_data_status_.has_dyn_sized_stack, 0
	.set _ZN9rocsparseL23check_matrix_csr_deviceILj256ELj256EdllEEvT3_S1_T2_PKT1_PKS2_PKS1_S9_21rocsparse_index_base_22rocsparse_matrix_type_20rocsparse_fill_mode_23rocsparse_storage_mode_P22rocsparse_data_status_.has_recursion, 0
	.set _ZN9rocsparseL23check_matrix_csr_deviceILj256ELj256EdllEEvT3_S1_T2_PKT1_PKS2_PKS1_S9_21rocsparse_index_base_22rocsparse_matrix_type_20rocsparse_fill_mode_23rocsparse_storage_mode_P22rocsparse_data_status_.has_indirect_call, 0
	.section	.AMDGPU.csdata,"",@progbits
; Kernel info:
; codeLenInByte = 936
; TotalNumSgprs: 54
; NumVgprs: 24
; ScratchSize: 0
; MemoryBound: 0
; FloatMode: 240
; IeeeMode: 1
; LDSByteSize: 0 bytes/workgroup (compile time only)
; SGPRBlocks: 6
; VGPRBlocks: 5
; NumSGPRsForWavesPerEU: 54
; NumVGPRsForWavesPerEU: 24
; Occupancy: 10
; WaveLimiterHint : 0
; COMPUTE_PGM_RSRC2:SCRATCH_EN: 0
; COMPUTE_PGM_RSRC2:USER_SGPR: 6
; COMPUTE_PGM_RSRC2:TRAP_HANDLER: 0
; COMPUTE_PGM_RSRC2:TGID_X_EN: 1
; COMPUTE_PGM_RSRC2:TGID_Y_EN: 0
; COMPUTE_PGM_RSRC2:TGID_Z_EN: 0
; COMPUTE_PGM_RSRC2:TIDIG_COMP_CNT: 0
	.section	.text._ZN9rocsparseL23check_matrix_csr_deviceILj256ELj4E21rocsparse_complex_numIfEllEEvT3_S3_T2_PKT1_PKS4_PKS3_SB_21rocsparse_index_base_22rocsparse_matrix_type_20rocsparse_fill_mode_23rocsparse_storage_mode_P22rocsparse_data_status_,"axG",@progbits,_ZN9rocsparseL23check_matrix_csr_deviceILj256ELj4E21rocsparse_complex_numIfEllEEvT3_S3_T2_PKT1_PKS4_PKS3_SB_21rocsparse_index_base_22rocsparse_matrix_type_20rocsparse_fill_mode_23rocsparse_storage_mode_P22rocsparse_data_status_,comdat
	.globl	_ZN9rocsparseL23check_matrix_csr_deviceILj256ELj4E21rocsparse_complex_numIfEllEEvT3_S3_T2_PKT1_PKS4_PKS3_SB_21rocsparse_index_base_22rocsparse_matrix_type_20rocsparse_fill_mode_23rocsparse_storage_mode_P22rocsparse_data_status_ ; -- Begin function _ZN9rocsparseL23check_matrix_csr_deviceILj256ELj4E21rocsparse_complex_numIfEllEEvT3_S3_T2_PKT1_PKS4_PKS3_SB_21rocsparse_index_base_22rocsparse_matrix_type_20rocsparse_fill_mode_23rocsparse_storage_mode_P22rocsparse_data_status_
	.p2align	8
	.type	_ZN9rocsparseL23check_matrix_csr_deviceILj256ELj4E21rocsparse_complex_numIfEllEEvT3_S3_T2_PKT1_PKS4_PKS3_SB_21rocsparse_index_base_22rocsparse_matrix_type_20rocsparse_fill_mode_23rocsparse_storage_mode_P22rocsparse_data_status_,@function
_ZN9rocsparseL23check_matrix_csr_deviceILj256ELj4E21rocsparse_complex_numIfEllEEvT3_S3_T2_PKT1_PKS4_PKS3_SB_21rocsparse_index_base_22rocsparse_matrix_type_20rocsparse_fill_mode_23rocsparse_storage_mode_P22rocsparse_data_status_: ; @_ZN9rocsparseL23check_matrix_csr_deviceILj256ELj4E21rocsparse_complex_numIfEllEEvT3_S3_T2_PKT1_PKS4_PKS3_SB_21rocsparse_index_base_22rocsparse_matrix_type_20rocsparse_fill_mode_23rocsparse_storage_mode_P22rocsparse_data_status_
; %bb.0:
	s_load_dwordx4 s[16:19], s[4:5], 0x0
	v_lshl_or_b32 v1, s6, 8, v0
	v_lshrrev_b32_e32 v1, 2, v1
	v_mov_b32_e32 v2, 0
	s_waitcnt lgkmcnt(0)
	v_cmp_gt_i64_e32 vcc, s[16:17], v[1:2]
	s_and_saveexec_b64 s[0:1], vcc
	s_cbranch_execz .LBB76_31
; %bb.1:
	s_load_dwordx2 s[0:1], s[4:5], 0x20
	v_lshlrev_b64 v[3:4], 3, v[1:2]
	v_mov_b32_e32 v21, 3
	s_mov_b64 s[10:11], -1
	s_mov_b64 s[8:9], 0
	s_waitcnt lgkmcnt(0)
	v_mov_b32_e32 v5, s1
	v_add_co_u32_e32 v3, vcc, s0, v3
	v_addc_co_u32_e32 v4, vcc, v5, v4, vcc
	global_load_dwordx4 v[7:10], v[3:4], off
	s_load_dwordx2 s[0:1], s[0:1], 0x0
	s_waitcnt lgkmcnt(0)
	v_mov_b32_e32 v6, s1
	s_waitcnt vmcnt(0)
	v_subrev_co_u32_e32 v3, vcc, s0, v7
	v_subb_co_u32_e32 v4, vcc, v8, v6, vcc
	v_subrev_co_u32_e32 v5, vcc, s0, v9
	v_subb_co_u32_e32 v6, vcc, v10, v6, vcc
	v_cmp_gt_i64_e64 s[0:1], 0, v[5:6]
	v_cmp_lt_i64_e64 s[2:3], v[9:10], v[7:8]
	v_cmp_lt_i64_e32 vcc, -1, v[3:4]
	s_or_b64 s[0:1], s[0:1], s[2:3]
	s_xor_b64 s[0:1], s[0:1], -1
	s_and_b64 s[0:1], vcc, s[0:1]
	s_and_saveexec_b64 s[6:7], s[0:1]
	s_cbranch_execz .LBB76_29
; %bb.2:
	v_and_b32_e32 v0, 3, v0
	v_add_co_u32_e32 v7, vcc, v3, v0
	v_addc_co_u32_e32 v8, vcc, 0, v4, vcc
	v_cmp_lt_u64_e32 vcc, v[7:8], v[5:6]
	v_mov_b32_e32 v21, 3
	s_and_saveexec_b64 s[16:17], vcc
	s_cbranch_execz .LBB76_28
; %bb.3:
	s_load_dwordx8 s[8:15], s[4:5], 0x28
	s_load_dwordx2 s[0:1], s[4:5], 0x18
	v_lshlrev_b64 v[13:14], 3, v[7:8]
                                        ; implicit-def: $sgpr24_sgpr25
                                        ; implicit-def: $sgpr26_sgpr27
	v_add_co_u32_e32 v0, vcc, -8, v13
	v_addc_co_u32_e32 v12, vcc, -1, v14, vcc
	s_waitcnt lgkmcnt(0)
	v_mov_b32_e32 v10, s11
	v_add_co_u32_e32 v9, vcc, s10, v0
	v_addc_co_u32_e32 v10, vcc, v10, v12, vcc
	v_mov_b32_e32 v15, s9
	v_add_co_u32_e32 v11, vcc, s8, v0
	v_addc_co_u32_e32 v12, vcc, v15, v12, vcc
	s_cmp_lg_u32 s13, 0
	v_mov_b32_e32 v0, s1
	v_add_co_u32_e32 v13, vcc, s0, v13
	s_cselect_b64 s[20:21], -1, 0
	s_cmp_lg_u32 s14, 0
	v_addc_co_u32_e32 v0, vcc, v0, v14, vcc
	s_cselect_b64 s[22:23], -1, 0
	s_cmp_lg_u32 s15, 0
	v_add_co_u32_e32 v13, vcc, 4, v13
	s_cselect_b64 s[14:15], -1, 0
	v_addc_co_u32_e32 v14, vcc, 0, v0, vcc
	s_mov_b64 s[8:9], 0
	s_mov_b32 s13, 0x7f800000
                                        ; implicit-def: $sgpr10_sgpr11
	s_branch .LBB76_10
.LBB76_4:                               ;   in Loop: Header=BB76_10 Depth=1
	s_or_b64 exec, exec, s[0:1]
	s_orn2_b64 s[42:43], s[2:3], exec
	s_orn2_b64 s[0:1], s[38:39], exec
.LBB76_5:                               ;   in Loop: Header=BB76_10 Depth=1
	s_or_b64 exec, exec, s[40:41]
	s_orn2_b64 s[2:3], s[42:43], exec
	s_orn2_b64 s[0:1], s[0:1], exec
.LBB76_6:                               ;   in Loop: Header=BB76_10 Depth=1
	s_or_b64 exec, exec, s[36:37]
	s_orn2_b64 s[36:37], s[2:3], exec
	s_orn2_b64 s[2:3], s[0:1], exec
.LBB76_7:                               ;   in Loop: Header=BB76_10 Depth=1
	s_or_b64 exec, exec, s[34:35]
	s_orn2_b64 s[34:35], s[36:37], exec
	s_orn2_b64 s[0:1], s[2:3], exec
.LBB76_8:                               ;   in Loop: Header=BB76_10 Depth=1
	s_or_b64 exec, exec, s[30:31]
	s_andn2_b64 s[2:3], s[26:27], exec
	s_and_b64 s[26:27], s[34:35], exec
	s_or_b64 s[26:27], s[2:3], s[26:27]
	s_andn2_b64 s[2:3], s[24:25], exec
	s_and_b64 s[0:1], s[0:1], exec
	s_or_b64 s[24:25], s[2:3], s[0:1]
.LBB76_9:                               ;   in Loop: Header=BB76_10 Depth=1
	s_or_b64 exec, exec, s[28:29]
	s_and_b64 s[0:1], exec, s[24:25]
	s_or_b64 s[8:9], s[0:1], s[8:9]
	s_andn2_b64 s[0:1], s[10:11], exec
	s_and_b64 s[2:3], s[26:27], exec
	s_or_b64 s[10:11], s[0:1], s[2:3]
	s_andn2_b64 exec, exec, s[8:9]
	s_cbranch_execz .LBB76_27
.LBB76_10:                              ; =>This Inner Loop Header: Depth=1
	global_load_dwordx2 v[15:16], v[11:12], off offset:8
	v_mov_b32_e32 v21, 4
	s_or_b64 s[26:27], s[26:27], exec
	s_or_b64 s[24:25], s[24:25], exec
	s_waitcnt vmcnt(0)
	v_subrev_co_u32_e32 v17, vcc, s12, v15
	v_subbrev_co_u32_e32 v18, vcc, 0, v16, vcc
	v_cmp_lt_i64_e32 vcc, -1, v[17:18]
	v_cmp_gt_i64_e64 s[0:1], s[18:19], v[17:18]
	s_and_b64 s[0:1], vcc, s[0:1]
	s_and_saveexec_b64 s[28:29], s[0:1]
	s_cbranch_execz .LBB76_9
; %bb.11:                               ;   in Loop: Header=BB76_10 Depth=1
	v_cmp_le_i64_e64 s[38:39], v[7:8], v[3:4]
	v_cmp_gt_i64_e32 vcc, v[7:8], v[3:4]
	v_mov_b32_e32 v21, 4
	s_mov_b64 s[2:3], s[38:39]
	s_and_saveexec_b64 s[30:31], vcc
	s_cbranch_execz .LBB76_13
; %bb.12:                               ;   in Loop: Header=BB76_10 Depth=1
	global_load_dwordx4 v[19:22], v[9:10], off
	s_waitcnt vmcnt(0)
	v_subrev_co_u32_e32 v23, vcc, s12, v19
	v_subbrev_co_u32_e32 v24, vcc, 0, v20, vcc
	v_cmp_lt_i64_e64 s[0:1], -1, v[23:24]
	v_cmp_gt_i64_e64 s[2:3], s[18:19], v[23:24]
	v_cmp_ne_u64_e32 vcc, v[21:22], v[19:20]
	s_and_b64 s[0:1], s[0:1], s[2:3]
	s_xor_b64 s[0:1], s[0:1], -1
	s_or_b64 s[0:1], vcc, s[0:1]
	s_andn2_b64 s[2:3], s[38:39], exec
	s_and_b64 s[0:1], s[0:1], exec
	v_mov_b32_e32 v21, 5
	s_or_b64 s[2:3], s[2:3], s[0:1]
.LBB76_13:                              ;   in Loop: Header=BB76_10 Depth=1
	s_or_b64 exec, exec, s[30:31]
	s_mov_b64 s[0:1], -1
	s_mov_b64 s[34:35], -1
	s_and_saveexec_b64 s[30:31], s[2:3]
	s_cbranch_execz .LBB76_8
; %bb.14:                               ;   in Loop: Header=BB76_10 Depth=1
	global_load_dwordx2 v[19:20], v[13:14], off offset:-4
	v_mov_b32_e32 v21, 1
	s_mov_b64 s[2:3], -1
	s_mov_b64 s[36:37], -1
	s_waitcnt vmcnt(0)
	v_cmp_neq_f32_e32 vcc, s13, v19
	v_cmp_neq_f32_e64 s[0:1], s13, v20
	s_and_b64 s[0:1], vcc, s[0:1]
	s_and_saveexec_b64 s[34:35], s[0:1]
	s_cbranch_execz .LBB76_7
; %bb.15:                               ;   in Loop: Header=BB76_10 Depth=1
	v_cmp_o_f32_e32 vcc, v19, v20
	v_mov_b32_e32 v21, 2
	s_mov_b64 s[0:1], -1
	s_and_saveexec_b64 s[36:37], vcc
	s_cbranch_execz .LBB76_6
; %bb.16:                               ;   in Loop: Header=BB76_10 Depth=1
	s_and_b64 vcc, exec, s[20:21]
	s_cbranch_vccz .LBB76_19
; %bb.17:                               ;   in Loop: Header=BB76_10 Depth=1
	s_and_b64 vcc, exec, s[22:23]
	s_cbranch_vccz .LBB76_20
; %bb.18:                               ;   in Loop: Header=BB76_10 Depth=1
	v_cmp_ge_i64_e32 vcc, v[17:18], v[1:2]
	s_mov_b32 s33, 7
	s_and_b64 s[2:3], vcc, exec
	s_cbranch_execz .LBB76_21
	s_branch .LBB76_22
.LBB76_19:                              ;   in Loop: Header=BB76_10 Depth=1
	s_mov_b32 s33, 2
	s_branch .LBB76_22
.LBB76_20:                              ;   in Loop: Header=BB76_10 Depth=1
	s_mov_b64 s[2:3], 0
	s_mov_b32 s33, 2
.LBB76_21:                              ;   in Loop: Header=BB76_10 Depth=1
	v_cmp_le_i64_e32 vcc, v[17:18], v[1:2]
	s_andn2_b64 s[2:3], s[2:3], exec
	s_and_b64 s[40:41], vcc, exec
	s_mov_b32 s33, 7
	s_or_b64 s[2:3], s[2:3], s[40:41]
.LBB76_22:                              ;   in Loop: Header=BB76_10 Depth=1
	v_mov_b32_e32 v21, s33
	s_mov_b64 s[42:43], -1
	s_and_saveexec_b64 s[40:41], s[2:3]
	s_cbranch_execz .LBB76_5
; %bb.23:                               ;   in Loop: Header=BB76_10 Depth=1
	s_nor_b64 s[0:1], s[14:15], s[38:39]
	s_mov_b64 s[38:39], -1
	v_mov_b32_e32 v21, s33
	s_mov_b64 s[44:45], -1
	s_and_saveexec_b64 s[42:43], s[0:1]
	s_cbranch_execz .LBB76_25
; %bb.24:                               ;   in Loop: Header=BB76_10 Depth=1
	global_load_dwordx2 v[17:18], v[11:12], off
	v_mov_b32_e32 v21, 6
	s_waitcnt vmcnt(0)
	v_subrev_co_u32_e32 v19, vcc, s12, v17
	v_subbrev_co_u32_e32 v20, vcc, 0, v18, vcc
	v_cmp_lt_i64_e32 vcc, -1, v[19:20]
	v_cmp_gt_i64_e64 s[0:1], s[18:19], v[19:20]
	v_cmp_gt_i64_e64 s[2:3], v[15:16], v[17:18]
	s_and_b64 s[0:1], vcc, s[0:1]
	s_xor_b64 s[0:1], s[0:1], -1
	s_or_b64 s[0:1], s[2:3], s[0:1]
	s_orn2_b64 s[44:45], s[0:1], exec
.LBB76_25:                              ;   in Loop: Header=BB76_10 Depth=1
	s_or_b64 exec, exec, s[42:43]
	s_mov_b64 s[2:3], -1
	s_and_saveexec_b64 s[0:1], s[44:45]
	s_cbranch_execz .LBB76_4
; %bb.26:                               ;   in Loop: Header=BB76_10 Depth=1
	v_add_co_u32_e32 v7, vcc, 4, v7
	v_addc_co_u32_e32 v8, vcc, 0, v8, vcc
	v_add_co_u32_e32 v9, vcc, 32, v9
	v_addc_co_u32_e32 v10, vcc, 0, v10, vcc
	;; [unrolled: 2-line block ×4, first 2 shown]
	v_cmp_ge_i64_e32 vcc, v[7:8], v[5:6]
	s_xor_b64 s[2:3], exec, -1
	s_orn2_b64 s[38:39], vcc, exec
	s_branch .LBB76_4
.LBB76_27:
	s_or_b64 exec, exec, s[8:9]
	s_and_b64 s[8:9], s[10:11], exec
.LBB76_28:
	s_or_b64 exec, exec, s[16:17]
	s_orn2_b64 s[10:11], s[8:9], exec
.LBB76_29:
	s_or_b64 exec, exec, s[6:7]
	s_and_b64 exec, exec, s[10:11]
	s_cbranch_execz .LBB76_31
; %bb.30:
	s_load_dwordx2 s[0:1], s[4:5], 0x48
	v_mov_b32_e32 v0, 0
	s_waitcnt lgkmcnt(0)
	global_store_dword v0, v21, s[0:1]
.LBB76_31:
	s_endpgm
	.section	.rodata,"a",@progbits
	.p2align	6, 0x0
	.amdhsa_kernel _ZN9rocsparseL23check_matrix_csr_deviceILj256ELj4E21rocsparse_complex_numIfEllEEvT3_S3_T2_PKT1_PKS4_PKS3_SB_21rocsparse_index_base_22rocsparse_matrix_type_20rocsparse_fill_mode_23rocsparse_storage_mode_P22rocsparse_data_status_
		.amdhsa_group_segment_fixed_size 0
		.amdhsa_private_segment_fixed_size 0
		.amdhsa_kernarg_size 80
		.amdhsa_user_sgpr_count 6
		.amdhsa_user_sgpr_private_segment_buffer 1
		.amdhsa_user_sgpr_dispatch_ptr 0
		.amdhsa_user_sgpr_queue_ptr 0
		.amdhsa_user_sgpr_kernarg_segment_ptr 1
		.amdhsa_user_sgpr_dispatch_id 0
		.amdhsa_user_sgpr_flat_scratch_init 0
		.amdhsa_user_sgpr_private_segment_size 0
		.amdhsa_uses_dynamic_stack 0
		.amdhsa_system_sgpr_private_segment_wavefront_offset 0
		.amdhsa_system_sgpr_workgroup_id_x 1
		.amdhsa_system_sgpr_workgroup_id_y 0
		.amdhsa_system_sgpr_workgroup_id_z 0
		.amdhsa_system_sgpr_workgroup_info 0
		.amdhsa_system_vgpr_workitem_id 0
		.amdhsa_next_free_vgpr 25
		.amdhsa_next_free_sgpr 46
		.amdhsa_reserve_vcc 1
		.amdhsa_reserve_flat_scratch 0
		.amdhsa_float_round_mode_32 0
		.amdhsa_float_round_mode_16_64 0
		.amdhsa_float_denorm_mode_32 3
		.amdhsa_float_denorm_mode_16_64 3
		.amdhsa_dx10_clamp 1
		.amdhsa_ieee_mode 1
		.amdhsa_fp16_overflow 0
		.amdhsa_exception_fp_ieee_invalid_op 0
		.amdhsa_exception_fp_denorm_src 0
		.amdhsa_exception_fp_ieee_div_zero 0
		.amdhsa_exception_fp_ieee_overflow 0
		.amdhsa_exception_fp_ieee_underflow 0
		.amdhsa_exception_fp_ieee_inexact 0
		.amdhsa_exception_int_div_zero 0
	.end_amdhsa_kernel
	.section	.text._ZN9rocsparseL23check_matrix_csr_deviceILj256ELj4E21rocsparse_complex_numIfEllEEvT3_S3_T2_PKT1_PKS4_PKS3_SB_21rocsparse_index_base_22rocsparse_matrix_type_20rocsparse_fill_mode_23rocsparse_storage_mode_P22rocsparse_data_status_,"axG",@progbits,_ZN9rocsparseL23check_matrix_csr_deviceILj256ELj4E21rocsparse_complex_numIfEllEEvT3_S3_T2_PKT1_PKS4_PKS3_SB_21rocsparse_index_base_22rocsparse_matrix_type_20rocsparse_fill_mode_23rocsparse_storage_mode_P22rocsparse_data_status_,comdat
.Lfunc_end76:
	.size	_ZN9rocsparseL23check_matrix_csr_deviceILj256ELj4E21rocsparse_complex_numIfEllEEvT3_S3_T2_PKT1_PKS4_PKS3_SB_21rocsparse_index_base_22rocsparse_matrix_type_20rocsparse_fill_mode_23rocsparse_storage_mode_P22rocsparse_data_status_, .Lfunc_end76-_ZN9rocsparseL23check_matrix_csr_deviceILj256ELj4E21rocsparse_complex_numIfEllEEvT3_S3_T2_PKT1_PKS4_PKS3_SB_21rocsparse_index_base_22rocsparse_matrix_type_20rocsparse_fill_mode_23rocsparse_storage_mode_P22rocsparse_data_status_
                                        ; -- End function
	.set _ZN9rocsparseL23check_matrix_csr_deviceILj256ELj4E21rocsparse_complex_numIfEllEEvT3_S3_T2_PKT1_PKS4_PKS3_SB_21rocsparse_index_base_22rocsparse_matrix_type_20rocsparse_fill_mode_23rocsparse_storage_mode_P22rocsparse_data_status_.num_vgpr, 25
	.set _ZN9rocsparseL23check_matrix_csr_deviceILj256ELj4E21rocsparse_complex_numIfEllEEvT3_S3_T2_PKT1_PKS4_PKS3_SB_21rocsparse_index_base_22rocsparse_matrix_type_20rocsparse_fill_mode_23rocsparse_storage_mode_P22rocsparse_data_status_.num_agpr, 0
	.set _ZN9rocsparseL23check_matrix_csr_deviceILj256ELj4E21rocsparse_complex_numIfEllEEvT3_S3_T2_PKT1_PKS4_PKS3_SB_21rocsparse_index_base_22rocsparse_matrix_type_20rocsparse_fill_mode_23rocsparse_storage_mode_P22rocsparse_data_status_.numbered_sgpr, 46
	.set _ZN9rocsparseL23check_matrix_csr_deviceILj256ELj4E21rocsparse_complex_numIfEllEEvT3_S3_T2_PKT1_PKS4_PKS3_SB_21rocsparse_index_base_22rocsparse_matrix_type_20rocsparse_fill_mode_23rocsparse_storage_mode_P22rocsparse_data_status_.num_named_barrier, 0
	.set _ZN9rocsparseL23check_matrix_csr_deviceILj256ELj4E21rocsparse_complex_numIfEllEEvT3_S3_T2_PKT1_PKS4_PKS3_SB_21rocsparse_index_base_22rocsparse_matrix_type_20rocsparse_fill_mode_23rocsparse_storage_mode_P22rocsparse_data_status_.private_seg_size, 0
	.set _ZN9rocsparseL23check_matrix_csr_deviceILj256ELj4E21rocsparse_complex_numIfEllEEvT3_S3_T2_PKT1_PKS4_PKS3_SB_21rocsparse_index_base_22rocsparse_matrix_type_20rocsparse_fill_mode_23rocsparse_storage_mode_P22rocsparse_data_status_.uses_vcc, 1
	.set _ZN9rocsparseL23check_matrix_csr_deviceILj256ELj4E21rocsparse_complex_numIfEllEEvT3_S3_T2_PKT1_PKS4_PKS3_SB_21rocsparse_index_base_22rocsparse_matrix_type_20rocsparse_fill_mode_23rocsparse_storage_mode_P22rocsparse_data_status_.uses_flat_scratch, 0
	.set _ZN9rocsparseL23check_matrix_csr_deviceILj256ELj4E21rocsparse_complex_numIfEllEEvT3_S3_T2_PKT1_PKS4_PKS3_SB_21rocsparse_index_base_22rocsparse_matrix_type_20rocsparse_fill_mode_23rocsparse_storage_mode_P22rocsparse_data_status_.has_dyn_sized_stack, 0
	.set _ZN9rocsparseL23check_matrix_csr_deviceILj256ELj4E21rocsparse_complex_numIfEllEEvT3_S3_T2_PKT1_PKS4_PKS3_SB_21rocsparse_index_base_22rocsparse_matrix_type_20rocsparse_fill_mode_23rocsparse_storage_mode_P22rocsparse_data_status_.has_recursion, 0
	.set _ZN9rocsparseL23check_matrix_csr_deviceILj256ELj4E21rocsparse_complex_numIfEllEEvT3_S3_T2_PKT1_PKS4_PKS3_SB_21rocsparse_index_base_22rocsparse_matrix_type_20rocsparse_fill_mode_23rocsparse_storage_mode_P22rocsparse_data_status_.has_indirect_call, 0
	.section	.AMDGPU.csdata,"",@progbits
; Kernel info:
; codeLenInByte = 956
; TotalNumSgprs: 50
; NumVgprs: 25
; ScratchSize: 0
; MemoryBound: 0
; FloatMode: 240
; IeeeMode: 1
; LDSByteSize: 0 bytes/workgroup (compile time only)
; SGPRBlocks: 6
; VGPRBlocks: 6
; NumSGPRsForWavesPerEU: 50
; NumVGPRsForWavesPerEU: 25
; Occupancy: 9
; WaveLimiterHint : 0
; COMPUTE_PGM_RSRC2:SCRATCH_EN: 0
; COMPUTE_PGM_RSRC2:USER_SGPR: 6
; COMPUTE_PGM_RSRC2:TRAP_HANDLER: 0
; COMPUTE_PGM_RSRC2:TGID_X_EN: 1
; COMPUTE_PGM_RSRC2:TGID_Y_EN: 0
; COMPUTE_PGM_RSRC2:TGID_Z_EN: 0
; COMPUTE_PGM_RSRC2:TIDIG_COMP_CNT: 0
	.section	.text._ZN9rocsparseL23check_matrix_csr_deviceILj256ELj8E21rocsparse_complex_numIfEllEEvT3_S3_T2_PKT1_PKS4_PKS3_SB_21rocsparse_index_base_22rocsparse_matrix_type_20rocsparse_fill_mode_23rocsparse_storage_mode_P22rocsparse_data_status_,"axG",@progbits,_ZN9rocsparseL23check_matrix_csr_deviceILj256ELj8E21rocsparse_complex_numIfEllEEvT3_S3_T2_PKT1_PKS4_PKS3_SB_21rocsparse_index_base_22rocsparse_matrix_type_20rocsparse_fill_mode_23rocsparse_storage_mode_P22rocsparse_data_status_,comdat
	.globl	_ZN9rocsparseL23check_matrix_csr_deviceILj256ELj8E21rocsparse_complex_numIfEllEEvT3_S3_T2_PKT1_PKS4_PKS3_SB_21rocsparse_index_base_22rocsparse_matrix_type_20rocsparse_fill_mode_23rocsparse_storage_mode_P22rocsparse_data_status_ ; -- Begin function _ZN9rocsparseL23check_matrix_csr_deviceILj256ELj8E21rocsparse_complex_numIfEllEEvT3_S3_T2_PKT1_PKS4_PKS3_SB_21rocsparse_index_base_22rocsparse_matrix_type_20rocsparse_fill_mode_23rocsparse_storage_mode_P22rocsparse_data_status_
	.p2align	8
	.type	_ZN9rocsparseL23check_matrix_csr_deviceILj256ELj8E21rocsparse_complex_numIfEllEEvT3_S3_T2_PKT1_PKS4_PKS3_SB_21rocsparse_index_base_22rocsparse_matrix_type_20rocsparse_fill_mode_23rocsparse_storage_mode_P22rocsparse_data_status_,@function
_ZN9rocsparseL23check_matrix_csr_deviceILj256ELj8E21rocsparse_complex_numIfEllEEvT3_S3_T2_PKT1_PKS4_PKS3_SB_21rocsparse_index_base_22rocsparse_matrix_type_20rocsparse_fill_mode_23rocsparse_storage_mode_P22rocsparse_data_status_: ; @_ZN9rocsparseL23check_matrix_csr_deviceILj256ELj8E21rocsparse_complex_numIfEllEEvT3_S3_T2_PKT1_PKS4_PKS3_SB_21rocsparse_index_base_22rocsparse_matrix_type_20rocsparse_fill_mode_23rocsparse_storage_mode_P22rocsparse_data_status_
; %bb.0:
	s_load_dwordx4 s[16:19], s[4:5], 0x0
	v_lshl_or_b32 v1, s6, 8, v0
	v_lshrrev_b32_e32 v1, 3, v1
	v_mov_b32_e32 v2, 0
	s_waitcnt lgkmcnt(0)
	v_cmp_gt_i64_e32 vcc, s[16:17], v[1:2]
	s_and_saveexec_b64 s[0:1], vcc
	s_cbranch_execz .LBB77_31
; %bb.1:
	s_load_dwordx2 s[0:1], s[4:5], 0x20
	v_lshlrev_b32_e32 v3, 3, v1
	v_mov_b32_e32 v21, 3
	s_mov_b64 s[10:11], -1
	s_mov_b64 s[8:9], 0
	s_waitcnt lgkmcnt(0)
	global_load_dwordx4 v[7:10], v3, s[0:1]
	s_load_dwordx2 s[0:1], s[0:1], 0x0
	s_waitcnt lgkmcnt(0)
	v_mov_b32_e32 v6, s1
	s_waitcnt vmcnt(0)
	v_subrev_co_u32_e32 v3, vcc, s0, v7
	v_subb_co_u32_e32 v4, vcc, v8, v6, vcc
	v_subrev_co_u32_e32 v5, vcc, s0, v9
	v_subb_co_u32_e32 v6, vcc, v10, v6, vcc
	v_cmp_gt_i64_e64 s[0:1], 0, v[5:6]
	v_cmp_lt_i64_e64 s[2:3], v[9:10], v[7:8]
	v_cmp_lt_i64_e32 vcc, -1, v[3:4]
	s_or_b64 s[0:1], s[0:1], s[2:3]
	s_xor_b64 s[0:1], s[0:1], -1
	s_and_b64 s[0:1], vcc, s[0:1]
	s_and_saveexec_b64 s[6:7], s[0:1]
	s_cbranch_execz .LBB77_29
; %bb.2:
	v_and_b32_e32 v0, 7, v0
	v_add_co_u32_e32 v7, vcc, v3, v0
	v_addc_co_u32_e32 v8, vcc, 0, v4, vcc
	v_cmp_lt_u64_e32 vcc, v[7:8], v[5:6]
	v_mov_b32_e32 v21, 3
	s_and_saveexec_b64 s[16:17], vcc
	s_cbranch_execz .LBB77_28
; %bb.3:
	s_load_dwordx8 s[8:15], s[4:5], 0x28
	s_load_dwordx2 s[0:1], s[4:5], 0x18
	v_lshlrev_b64 v[13:14], 3, v[7:8]
                                        ; implicit-def: $sgpr24_sgpr25
                                        ; implicit-def: $sgpr26_sgpr27
	v_add_co_u32_e32 v0, vcc, -8, v13
	v_addc_co_u32_e32 v12, vcc, -1, v14, vcc
	s_waitcnt lgkmcnt(0)
	v_mov_b32_e32 v10, s11
	v_add_co_u32_e32 v9, vcc, s10, v0
	v_addc_co_u32_e32 v10, vcc, v10, v12, vcc
	v_mov_b32_e32 v15, s9
	v_add_co_u32_e32 v11, vcc, s8, v0
	v_addc_co_u32_e32 v12, vcc, v15, v12, vcc
	s_cmp_lg_u32 s13, 0
	v_mov_b32_e32 v0, s1
	v_add_co_u32_e32 v13, vcc, s0, v13
	s_cselect_b64 s[20:21], -1, 0
	s_cmp_lg_u32 s14, 0
	v_addc_co_u32_e32 v0, vcc, v0, v14, vcc
	s_cselect_b64 s[22:23], -1, 0
	s_cmp_lg_u32 s15, 0
	v_add_co_u32_e32 v13, vcc, 4, v13
	s_cselect_b64 s[14:15], -1, 0
	v_addc_co_u32_e32 v14, vcc, 0, v0, vcc
	s_mov_b64 s[8:9], 0
	s_mov_b32 s13, 0x7f800000
                                        ; implicit-def: $sgpr10_sgpr11
	s_branch .LBB77_10
.LBB77_4:                               ;   in Loop: Header=BB77_10 Depth=1
	s_or_b64 exec, exec, s[0:1]
	s_orn2_b64 s[42:43], s[2:3], exec
	s_orn2_b64 s[0:1], s[38:39], exec
.LBB77_5:                               ;   in Loop: Header=BB77_10 Depth=1
	s_or_b64 exec, exec, s[40:41]
	s_orn2_b64 s[2:3], s[42:43], exec
	s_orn2_b64 s[0:1], s[0:1], exec
.LBB77_6:                               ;   in Loop: Header=BB77_10 Depth=1
	s_or_b64 exec, exec, s[36:37]
	s_orn2_b64 s[36:37], s[2:3], exec
	s_orn2_b64 s[2:3], s[0:1], exec
.LBB77_7:                               ;   in Loop: Header=BB77_10 Depth=1
	s_or_b64 exec, exec, s[34:35]
	s_orn2_b64 s[34:35], s[36:37], exec
	s_orn2_b64 s[0:1], s[2:3], exec
.LBB77_8:                               ;   in Loop: Header=BB77_10 Depth=1
	s_or_b64 exec, exec, s[30:31]
	s_andn2_b64 s[2:3], s[26:27], exec
	s_and_b64 s[26:27], s[34:35], exec
	s_or_b64 s[26:27], s[2:3], s[26:27]
	s_andn2_b64 s[2:3], s[24:25], exec
	s_and_b64 s[0:1], s[0:1], exec
	s_or_b64 s[24:25], s[2:3], s[0:1]
.LBB77_9:                               ;   in Loop: Header=BB77_10 Depth=1
	s_or_b64 exec, exec, s[28:29]
	s_and_b64 s[0:1], exec, s[24:25]
	s_or_b64 s[8:9], s[0:1], s[8:9]
	s_andn2_b64 s[0:1], s[10:11], exec
	s_and_b64 s[2:3], s[26:27], exec
	s_or_b64 s[10:11], s[0:1], s[2:3]
	s_andn2_b64 exec, exec, s[8:9]
	s_cbranch_execz .LBB77_27
.LBB77_10:                              ; =>This Inner Loop Header: Depth=1
	global_load_dwordx2 v[15:16], v[11:12], off offset:8
	v_mov_b32_e32 v21, 4
	s_or_b64 s[26:27], s[26:27], exec
	s_or_b64 s[24:25], s[24:25], exec
	s_waitcnt vmcnt(0)
	v_subrev_co_u32_e32 v17, vcc, s12, v15
	v_subbrev_co_u32_e32 v18, vcc, 0, v16, vcc
	v_cmp_lt_i64_e32 vcc, -1, v[17:18]
	v_cmp_gt_i64_e64 s[0:1], s[18:19], v[17:18]
	s_and_b64 s[0:1], vcc, s[0:1]
	s_and_saveexec_b64 s[28:29], s[0:1]
	s_cbranch_execz .LBB77_9
; %bb.11:                               ;   in Loop: Header=BB77_10 Depth=1
	v_cmp_le_i64_e64 s[38:39], v[7:8], v[3:4]
	v_cmp_gt_i64_e32 vcc, v[7:8], v[3:4]
	v_mov_b32_e32 v21, 4
	s_mov_b64 s[2:3], s[38:39]
	s_and_saveexec_b64 s[30:31], vcc
	s_cbranch_execz .LBB77_13
; %bb.12:                               ;   in Loop: Header=BB77_10 Depth=1
	global_load_dwordx4 v[19:22], v[9:10], off
	s_waitcnt vmcnt(0)
	v_subrev_co_u32_e32 v23, vcc, s12, v19
	v_subbrev_co_u32_e32 v24, vcc, 0, v20, vcc
	v_cmp_lt_i64_e64 s[0:1], -1, v[23:24]
	v_cmp_gt_i64_e64 s[2:3], s[18:19], v[23:24]
	v_cmp_ne_u64_e32 vcc, v[21:22], v[19:20]
	s_and_b64 s[0:1], s[0:1], s[2:3]
	s_xor_b64 s[0:1], s[0:1], -1
	s_or_b64 s[0:1], vcc, s[0:1]
	s_andn2_b64 s[2:3], s[38:39], exec
	s_and_b64 s[0:1], s[0:1], exec
	v_mov_b32_e32 v21, 5
	s_or_b64 s[2:3], s[2:3], s[0:1]
.LBB77_13:                              ;   in Loop: Header=BB77_10 Depth=1
	s_or_b64 exec, exec, s[30:31]
	s_mov_b64 s[0:1], -1
	s_mov_b64 s[34:35], -1
	s_and_saveexec_b64 s[30:31], s[2:3]
	s_cbranch_execz .LBB77_8
; %bb.14:                               ;   in Loop: Header=BB77_10 Depth=1
	global_load_dwordx2 v[19:20], v[13:14], off offset:-4
	v_mov_b32_e32 v21, 1
	s_mov_b64 s[2:3], -1
	s_mov_b64 s[36:37], -1
	s_waitcnt vmcnt(0)
	v_cmp_neq_f32_e32 vcc, s13, v19
	v_cmp_neq_f32_e64 s[0:1], s13, v20
	s_and_b64 s[0:1], vcc, s[0:1]
	s_and_saveexec_b64 s[34:35], s[0:1]
	s_cbranch_execz .LBB77_7
; %bb.15:                               ;   in Loop: Header=BB77_10 Depth=1
	v_cmp_o_f32_e32 vcc, v19, v20
	v_mov_b32_e32 v21, 2
	s_mov_b64 s[0:1], -1
	s_and_saveexec_b64 s[36:37], vcc
	s_cbranch_execz .LBB77_6
; %bb.16:                               ;   in Loop: Header=BB77_10 Depth=1
	s_and_b64 vcc, exec, s[20:21]
	s_cbranch_vccz .LBB77_19
; %bb.17:                               ;   in Loop: Header=BB77_10 Depth=1
	s_and_b64 vcc, exec, s[22:23]
	s_cbranch_vccz .LBB77_20
; %bb.18:                               ;   in Loop: Header=BB77_10 Depth=1
	v_cmp_ge_i64_e32 vcc, v[17:18], v[1:2]
	s_mov_b32 s33, 7
	s_and_b64 s[2:3], vcc, exec
	s_cbranch_execz .LBB77_21
	s_branch .LBB77_22
.LBB77_19:                              ;   in Loop: Header=BB77_10 Depth=1
	s_mov_b32 s33, 2
	s_branch .LBB77_22
.LBB77_20:                              ;   in Loop: Header=BB77_10 Depth=1
	s_mov_b64 s[2:3], 0
	s_mov_b32 s33, 2
.LBB77_21:                              ;   in Loop: Header=BB77_10 Depth=1
	v_cmp_le_i64_e32 vcc, v[17:18], v[1:2]
	s_andn2_b64 s[2:3], s[2:3], exec
	s_and_b64 s[40:41], vcc, exec
	s_mov_b32 s33, 7
	s_or_b64 s[2:3], s[2:3], s[40:41]
.LBB77_22:                              ;   in Loop: Header=BB77_10 Depth=1
	v_mov_b32_e32 v21, s33
	s_mov_b64 s[42:43], -1
	s_and_saveexec_b64 s[40:41], s[2:3]
	s_cbranch_execz .LBB77_5
; %bb.23:                               ;   in Loop: Header=BB77_10 Depth=1
	s_nor_b64 s[0:1], s[14:15], s[38:39]
	s_mov_b64 s[38:39], -1
	v_mov_b32_e32 v21, s33
	s_mov_b64 s[44:45], -1
	s_and_saveexec_b64 s[42:43], s[0:1]
	s_cbranch_execz .LBB77_25
; %bb.24:                               ;   in Loop: Header=BB77_10 Depth=1
	global_load_dwordx2 v[17:18], v[11:12], off
	v_mov_b32_e32 v21, 6
	s_waitcnt vmcnt(0)
	v_subrev_co_u32_e32 v19, vcc, s12, v17
	v_subbrev_co_u32_e32 v20, vcc, 0, v18, vcc
	v_cmp_lt_i64_e32 vcc, -1, v[19:20]
	v_cmp_gt_i64_e64 s[0:1], s[18:19], v[19:20]
	v_cmp_gt_i64_e64 s[2:3], v[15:16], v[17:18]
	s_and_b64 s[0:1], vcc, s[0:1]
	s_xor_b64 s[0:1], s[0:1], -1
	s_or_b64 s[0:1], s[2:3], s[0:1]
	s_orn2_b64 s[44:45], s[0:1], exec
.LBB77_25:                              ;   in Loop: Header=BB77_10 Depth=1
	s_or_b64 exec, exec, s[42:43]
	s_mov_b64 s[2:3], -1
	s_and_saveexec_b64 s[0:1], s[44:45]
	s_cbranch_execz .LBB77_4
; %bb.26:                               ;   in Loop: Header=BB77_10 Depth=1
	v_add_co_u32_e32 v7, vcc, 8, v7
	v_addc_co_u32_e32 v8, vcc, 0, v8, vcc
	v_add_co_u32_e32 v9, vcc, 64, v9
	v_addc_co_u32_e32 v10, vcc, 0, v10, vcc
	;; [unrolled: 2-line block ×4, first 2 shown]
	v_cmp_ge_i64_e32 vcc, v[7:8], v[5:6]
	s_xor_b64 s[2:3], exec, -1
	s_orn2_b64 s[38:39], vcc, exec
	s_branch .LBB77_4
.LBB77_27:
	s_or_b64 exec, exec, s[8:9]
	s_and_b64 s[8:9], s[10:11], exec
.LBB77_28:
	s_or_b64 exec, exec, s[16:17]
	s_orn2_b64 s[10:11], s[8:9], exec
.LBB77_29:
	s_or_b64 exec, exec, s[6:7]
	s_and_b64 exec, exec, s[10:11]
	s_cbranch_execz .LBB77_31
; %bb.30:
	s_load_dwordx2 s[0:1], s[4:5], 0x48
	v_mov_b32_e32 v0, 0
	s_waitcnt lgkmcnt(0)
	global_store_dword v0, v21, s[0:1]
.LBB77_31:
	s_endpgm
	.section	.rodata,"a",@progbits
	.p2align	6, 0x0
	.amdhsa_kernel _ZN9rocsparseL23check_matrix_csr_deviceILj256ELj8E21rocsparse_complex_numIfEllEEvT3_S3_T2_PKT1_PKS4_PKS3_SB_21rocsparse_index_base_22rocsparse_matrix_type_20rocsparse_fill_mode_23rocsparse_storage_mode_P22rocsparse_data_status_
		.amdhsa_group_segment_fixed_size 0
		.amdhsa_private_segment_fixed_size 0
		.amdhsa_kernarg_size 80
		.amdhsa_user_sgpr_count 6
		.amdhsa_user_sgpr_private_segment_buffer 1
		.amdhsa_user_sgpr_dispatch_ptr 0
		.amdhsa_user_sgpr_queue_ptr 0
		.amdhsa_user_sgpr_kernarg_segment_ptr 1
		.amdhsa_user_sgpr_dispatch_id 0
		.amdhsa_user_sgpr_flat_scratch_init 0
		.amdhsa_user_sgpr_private_segment_size 0
		.amdhsa_uses_dynamic_stack 0
		.amdhsa_system_sgpr_private_segment_wavefront_offset 0
		.amdhsa_system_sgpr_workgroup_id_x 1
		.amdhsa_system_sgpr_workgroup_id_y 0
		.amdhsa_system_sgpr_workgroup_id_z 0
		.amdhsa_system_sgpr_workgroup_info 0
		.amdhsa_system_vgpr_workitem_id 0
		.amdhsa_next_free_vgpr 25
		.amdhsa_next_free_sgpr 46
		.amdhsa_reserve_vcc 1
		.amdhsa_reserve_flat_scratch 0
		.amdhsa_float_round_mode_32 0
		.amdhsa_float_round_mode_16_64 0
		.amdhsa_float_denorm_mode_32 3
		.amdhsa_float_denorm_mode_16_64 3
		.amdhsa_dx10_clamp 1
		.amdhsa_ieee_mode 1
		.amdhsa_fp16_overflow 0
		.amdhsa_exception_fp_ieee_invalid_op 0
		.amdhsa_exception_fp_denorm_src 0
		.amdhsa_exception_fp_ieee_div_zero 0
		.amdhsa_exception_fp_ieee_overflow 0
		.amdhsa_exception_fp_ieee_underflow 0
		.amdhsa_exception_fp_ieee_inexact 0
		.amdhsa_exception_int_div_zero 0
	.end_amdhsa_kernel
	.section	.text._ZN9rocsparseL23check_matrix_csr_deviceILj256ELj8E21rocsparse_complex_numIfEllEEvT3_S3_T2_PKT1_PKS4_PKS3_SB_21rocsparse_index_base_22rocsparse_matrix_type_20rocsparse_fill_mode_23rocsparse_storage_mode_P22rocsparse_data_status_,"axG",@progbits,_ZN9rocsparseL23check_matrix_csr_deviceILj256ELj8E21rocsparse_complex_numIfEllEEvT3_S3_T2_PKT1_PKS4_PKS3_SB_21rocsparse_index_base_22rocsparse_matrix_type_20rocsparse_fill_mode_23rocsparse_storage_mode_P22rocsparse_data_status_,comdat
.Lfunc_end77:
	.size	_ZN9rocsparseL23check_matrix_csr_deviceILj256ELj8E21rocsparse_complex_numIfEllEEvT3_S3_T2_PKT1_PKS4_PKS3_SB_21rocsparse_index_base_22rocsparse_matrix_type_20rocsparse_fill_mode_23rocsparse_storage_mode_P22rocsparse_data_status_, .Lfunc_end77-_ZN9rocsparseL23check_matrix_csr_deviceILj256ELj8E21rocsparse_complex_numIfEllEEvT3_S3_T2_PKT1_PKS4_PKS3_SB_21rocsparse_index_base_22rocsparse_matrix_type_20rocsparse_fill_mode_23rocsparse_storage_mode_P22rocsparse_data_status_
                                        ; -- End function
	.set _ZN9rocsparseL23check_matrix_csr_deviceILj256ELj8E21rocsparse_complex_numIfEllEEvT3_S3_T2_PKT1_PKS4_PKS3_SB_21rocsparse_index_base_22rocsparse_matrix_type_20rocsparse_fill_mode_23rocsparse_storage_mode_P22rocsparse_data_status_.num_vgpr, 25
	.set _ZN9rocsparseL23check_matrix_csr_deviceILj256ELj8E21rocsparse_complex_numIfEllEEvT3_S3_T2_PKT1_PKS4_PKS3_SB_21rocsparse_index_base_22rocsparse_matrix_type_20rocsparse_fill_mode_23rocsparse_storage_mode_P22rocsparse_data_status_.num_agpr, 0
	.set _ZN9rocsparseL23check_matrix_csr_deviceILj256ELj8E21rocsparse_complex_numIfEllEEvT3_S3_T2_PKT1_PKS4_PKS3_SB_21rocsparse_index_base_22rocsparse_matrix_type_20rocsparse_fill_mode_23rocsparse_storage_mode_P22rocsparse_data_status_.numbered_sgpr, 46
	.set _ZN9rocsparseL23check_matrix_csr_deviceILj256ELj8E21rocsparse_complex_numIfEllEEvT3_S3_T2_PKT1_PKS4_PKS3_SB_21rocsparse_index_base_22rocsparse_matrix_type_20rocsparse_fill_mode_23rocsparse_storage_mode_P22rocsparse_data_status_.num_named_barrier, 0
	.set _ZN9rocsparseL23check_matrix_csr_deviceILj256ELj8E21rocsparse_complex_numIfEllEEvT3_S3_T2_PKT1_PKS4_PKS3_SB_21rocsparse_index_base_22rocsparse_matrix_type_20rocsparse_fill_mode_23rocsparse_storage_mode_P22rocsparse_data_status_.private_seg_size, 0
	.set _ZN9rocsparseL23check_matrix_csr_deviceILj256ELj8E21rocsparse_complex_numIfEllEEvT3_S3_T2_PKT1_PKS4_PKS3_SB_21rocsparse_index_base_22rocsparse_matrix_type_20rocsparse_fill_mode_23rocsparse_storage_mode_P22rocsparse_data_status_.uses_vcc, 1
	.set _ZN9rocsparseL23check_matrix_csr_deviceILj256ELj8E21rocsparse_complex_numIfEllEEvT3_S3_T2_PKT1_PKS4_PKS3_SB_21rocsparse_index_base_22rocsparse_matrix_type_20rocsparse_fill_mode_23rocsparse_storage_mode_P22rocsparse_data_status_.uses_flat_scratch, 0
	.set _ZN9rocsparseL23check_matrix_csr_deviceILj256ELj8E21rocsparse_complex_numIfEllEEvT3_S3_T2_PKT1_PKS4_PKS3_SB_21rocsparse_index_base_22rocsparse_matrix_type_20rocsparse_fill_mode_23rocsparse_storage_mode_P22rocsparse_data_status_.has_dyn_sized_stack, 0
	.set _ZN9rocsparseL23check_matrix_csr_deviceILj256ELj8E21rocsparse_complex_numIfEllEEvT3_S3_T2_PKT1_PKS4_PKS3_SB_21rocsparse_index_base_22rocsparse_matrix_type_20rocsparse_fill_mode_23rocsparse_storage_mode_P22rocsparse_data_status_.has_recursion, 0
	.set _ZN9rocsparseL23check_matrix_csr_deviceILj256ELj8E21rocsparse_complex_numIfEllEEvT3_S3_T2_PKT1_PKS4_PKS3_SB_21rocsparse_index_base_22rocsparse_matrix_type_20rocsparse_fill_mode_23rocsparse_storage_mode_P22rocsparse_data_status_.has_indirect_call, 0
	.section	.AMDGPU.csdata,"",@progbits
; Kernel info:
; codeLenInByte = 940
; TotalNumSgprs: 50
; NumVgprs: 25
; ScratchSize: 0
; MemoryBound: 0
; FloatMode: 240
; IeeeMode: 1
; LDSByteSize: 0 bytes/workgroup (compile time only)
; SGPRBlocks: 6
; VGPRBlocks: 6
; NumSGPRsForWavesPerEU: 50
; NumVGPRsForWavesPerEU: 25
; Occupancy: 9
; WaveLimiterHint : 0
; COMPUTE_PGM_RSRC2:SCRATCH_EN: 0
; COMPUTE_PGM_RSRC2:USER_SGPR: 6
; COMPUTE_PGM_RSRC2:TRAP_HANDLER: 0
; COMPUTE_PGM_RSRC2:TGID_X_EN: 1
; COMPUTE_PGM_RSRC2:TGID_Y_EN: 0
; COMPUTE_PGM_RSRC2:TGID_Z_EN: 0
; COMPUTE_PGM_RSRC2:TIDIG_COMP_CNT: 0
	.section	.text._ZN9rocsparseL23check_matrix_csr_deviceILj256ELj16E21rocsparse_complex_numIfEllEEvT3_S3_T2_PKT1_PKS4_PKS3_SB_21rocsparse_index_base_22rocsparse_matrix_type_20rocsparse_fill_mode_23rocsparse_storage_mode_P22rocsparse_data_status_,"axG",@progbits,_ZN9rocsparseL23check_matrix_csr_deviceILj256ELj16E21rocsparse_complex_numIfEllEEvT3_S3_T2_PKT1_PKS4_PKS3_SB_21rocsparse_index_base_22rocsparse_matrix_type_20rocsparse_fill_mode_23rocsparse_storage_mode_P22rocsparse_data_status_,comdat
	.globl	_ZN9rocsparseL23check_matrix_csr_deviceILj256ELj16E21rocsparse_complex_numIfEllEEvT3_S3_T2_PKT1_PKS4_PKS3_SB_21rocsparse_index_base_22rocsparse_matrix_type_20rocsparse_fill_mode_23rocsparse_storage_mode_P22rocsparse_data_status_ ; -- Begin function _ZN9rocsparseL23check_matrix_csr_deviceILj256ELj16E21rocsparse_complex_numIfEllEEvT3_S3_T2_PKT1_PKS4_PKS3_SB_21rocsparse_index_base_22rocsparse_matrix_type_20rocsparse_fill_mode_23rocsparse_storage_mode_P22rocsparse_data_status_
	.p2align	8
	.type	_ZN9rocsparseL23check_matrix_csr_deviceILj256ELj16E21rocsparse_complex_numIfEllEEvT3_S3_T2_PKT1_PKS4_PKS3_SB_21rocsparse_index_base_22rocsparse_matrix_type_20rocsparse_fill_mode_23rocsparse_storage_mode_P22rocsparse_data_status_,@function
_ZN9rocsparseL23check_matrix_csr_deviceILj256ELj16E21rocsparse_complex_numIfEllEEvT3_S3_T2_PKT1_PKS4_PKS3_SB_21rocsparse_index_base_22rocsparse_matrix_type_20rocsparse_fill_mode_23rocsparse_storage_mode_P22rocsparse_data_status_: ; @_ZN9rocsparseL23check_matrix_csr_deviceILj256ELj16E21rocsparse_complex_numIfEllEEvT3_S3_T2_PKT1_PKS4_PKS3_SB_21rocsparse_index_base_22rocsparse_matrix_type_20rocsparse_fill_mode_23rocsparse_storage_mode_P22rocsparse_data_status_
; %bb.0:
	s_load_dwordx4 s[16:19], s[4:5], 0x0
	v_lshl_or_b32 v1, s6, 8, v0
	v_lshrrev_b32_e32 v1, 4, v1
	v_mov_b32_e32 v2, 0
	s_waitcnt lgkmcnt(0)
	v_cmp_gt_i64_e32 vcc, s[16:17], v[1:2]
	s_and_saveexec_b64 s[0:1], vcc
	s_cbranch_execz .LBB78_31
; %bb.1:
	s_load_dwordx2 s[0:1], s[4:5], 0x20
	v_lshlrev_b32_e32 v3, 3, v1
	v_mov_b32_e32 v21, 3
	s_mov_b64 s[10:11], -1
	s_mov_b64 s[8:9], 0
	s_waitcnt lgkmcnt(0)
	global_load_dwordx4 v[7:10], v3, s[0:1]
	s_load_dwordx2 s[0:1], s[0:1], 0x0
	s_waitcnt lgkmcnt(0)
	v_mov_b32_e32 v6, s1
	s_waitcnt vmcnt(0)
	v_subrev_co_u32_e32 v3, vcc, s0, v7
	v_subb_co_u32_e32 v4, vcc, v8, v6, vcc
	v_subrev_co_u32_e32 v5, vcc, s0, v9
	v_subb_co_u32_e32 v6, vcc, v10, v6, vcc
	v_cmp_gt_i64_e64 s[0:1], 0, v[5:6]
	v_cmp_lt_i64_e64 s[2:3], v[9:10], v[7:8]
	v_cmp_lt_i64_e32 vcc, -1, v[3:4]
	s_or_b64 s[0:1], s[0:1], s[2:3]
	s_xor_b64 s[0:1], s[0:1], -1
	s_and_b64 s[0:1], vcc, s[0:1]
	s_and_saveexec_b64 s[6:7], s[0:1]
	s_cbranch_execz .LBB78_29
; %bb.2:
	v_and_b32_e32 v0, 15, v0
	v_add_co_u32_e32 v7, vcc, v3, v0
	v_addc_co_u32_e32 v8, vcc, 0, v4, vcc
	v_cmp_lt_u64_e32 vcc, v[7:8], v[5:6]
	v_mov_b32_e32 v21, 3
	s_and_saveexec_b64 s[16:17], vcc
	s_cbranch_execz .LBB78_28
; %bb.3:
	s_load_dwordx8 s[8:15], s[4:5], 0x28
	s_load_dwordx2 s[0:1], s[4:5], 0x18
	v_lshlrev_b64 v[13:14], 3, v[7:8]
                                        ; implicit-def: $sgpr24_sgpr25
                                        ; implicit-def: $sgpr26_sgpr27
	v_add_co_u32_e32 v0, vcc, -8, v13
	v_addc_co_u32_e32 v12, vcc, -1, v14, vcc
	s_waitcnt lgkmcnt(0)
	v_mov_b32_e32 v10, s11
	v_add_co_u32_e32 v9, vcc, s10, v0
	v_addc_co_u32_e32 v10, vcc, v10, v12, vcc
	v_mov_b32_e32 v15, s9
	v_add_co_u32_e32 v11, vcc, s8, v0
	v_addc_co_u32_e32 v12, vcc, v15, v12, vcc
	s_cmp_lg_u32 s13, 0
	v_mov_b32_e32 v0, s1
	v_add_co_u32_e32 v13, vcc, s0, v13
	s_cselect_b64 s[20:21], -1, 0
	s_cmp_lg_u32 s14, 0
	v_addc_co_u32_e32 v0, vcc, v0, v14, vcc
	s_cselect_b64 s[22:23], -1, 0
	s_cmp_lg_u32 s15, 0
	v_add_co_u32_e32 v13, vcc, 4, v13
	s_cselect_b64 s[14:15], -1, 0
	v_addc_co_u32_e32 v14, vcc, 0, v0, vcc
	s_mov_b64 s[8:9], 0
	s_mov_b32 s13, 0x7f800000
                                        ; implicit-def: $sgpr10_sgpr11
	s_branch .LBB78_10
.LBB78_4:                               ;   in Loop: Header=BB78_10 Depth=1
	s_or_b64 exec, exec, s[0:1]
	s_orn2_b64 s[42:43], s[2:3], exec
	s_orn2_b64 s[0:1], s[38:39], exec
.LBB78_5:                               ;   in Loop: Header=BB78_10 Depth=1
	s_or_b64 exec, exec, s[40:41]
	s_orn2_b64 s[2:3], s[42:43], exec
	s_orn2_b64 s[0:1], s[0:1], exec
.LBB78_6:                               ;   in Loop: Header=BB78_10 Depth=1
	s_or_b64 exec, exec, s[36:37]
	s_orn2_b64 s[36:37], s[2:3], exec
	s_orn2_b64 s[2:3], s[0:1], exec
.LBB78_7:                               ;   in Loop: Header=BB78_10 Depth=1
	s_or_b64 exec, exec, s[34:35]
	s_orn2_b64 s[34:35], s[36:37], exec
	s_orn2_b64 s[0:1], s[2:3], exec
.LBB78_8:                               ;   in Loop: Header=BB78_10 Depth=1
	s_or_b64 exec, exec, s[30:31]
	s_andn2_b64 s[2:3], s[26:27], exec
	s_and_b64 s[26:27], s[34:35], exec
	s_or_b64 s[26:27], s[2:3], s[26:27]
	s_andn2_b64 s[2:3], s[24:25], exec
	s_and_b64 s[0:1], s[0:1], exec
	s_or_b64 s[24:25], s[2:3], s[0:1]
.LBB78_9:                               ;   in Loop: Header=BB78_10 Depth=1
	s_or_b64 exec, exec, s[28:29]
	s_and_b64 s[0:1], exec, s[24:25]
	s_or_b64 s[8:9], s[0:1], s[8:9]
	s_andn2_b64 s[0:1], s[10:11], exec
	s_and_b64 s[2:3], s[26:27], exec
	s_or_b64 s[10:11], s[0:1], s[2:3]
	s_andn2_b64 exec, exec, s[8:9]
	s_cbranch_execz .LBB78_27
.LBB78_10:                              ; =>This Inner Loop Header: Depth=1
	global_load_dwordx2 v[15:16], v[11:12], off offset:8
	v_mov_b32_e32 v21, 4
	s_or_b64 s[26:27], s[26:27], exec
	s_or_b64 s[24:25], s[24:25], exec
	s_waitcnt vmcnt(0)
	v_subrev_co_u32_e32 v17, vcc, s12, v15
	v_subbrev_co_u32_e32 v18, vcc, 0, v16, vcc
	v_cmp_lt_i64_e32 vcc, -1, v[17:18]
	v_cmp_gt_i64_e64 s[0:1], s[18:19], v[17:18]
	s_and_b64 s[0:1], vcc, s[0:1]
	s_and_saveexec_b64 s[28:29], s[0:1]
	s_cbranch_execz .LBB78_9
; %bb.11:                               ;   in Loop: Header=BB78_10 Depth=1
	v_cmp_le_i64_e64 s[38:39], v[7:8], v[3:4]
	v_cmp_gt_i64_e32 vcc, v[7:8], v[3:4]
	v_mov_b32_e32 v21, 4
	s_mov_b64 s[2:3], s[38:39]
	s_and_saveexec_b64 s[30:31], vcc
	s_cbranch_execz .LBB78_13
; %bb.12:                               ;   in Loop: Header=BB78_10 Depth=1
	global_load_dwordx4 v[19:22], v[9:10], off
	s_waitcnt vmcnt(0)
	v_subrev_co_u32_e32 v23, vcc, s12, v19
	v_subbrev_co_u32_e32 v24, vcc, 0, v20, vcc
	v_cmp_lt_i64_e64 s[0:1], -1, v[23:24]
	v_cmp_gt_i64_e64 s[2:3], s[18:19], v[23:24]
	v_cmp_ne_u64_e32 vcc, v[21:22], v[19:20]
	s_and_b64 s[0:1], s[0:1], s[2:3]
	s_xor_b64 s[0:1], s[0:1], -1
	s_or_b64 s[0:1], vcc, s[0:1]
	s_andn2_b64 s[2:3], s[38:39], exec
	s_and_b64 s[0:1], s[0:1], exec
	v_mov_b32_e32 v21, 5
	s_or_b64 s[2:3], s[2:3], s[0:1]
.LBB78_13:                              ;   in Loop: Header=BB78_10 Depth=1
	s_or_b64 exec, exec, s[30:31]
	s_mov_b64 s[0:1], -1
	s_mov_b64 s[34:35], -1
	s_and_saveexec_b64 s[30:31], s[2:3]
	s_cbranch_execz .LBB78_8
; %bb.14:                               ;   in Loop: Header=BB78_10 Depth=1
	global_load_dwordx2 v[19:20], v[13:14], off offset:-4
	v_mov_b32_e32 v21, 1
	s_mov_b64 s[2:3], -1
	s_mov_b64 s[36:37], -1
	s_waitcnt vmcnt(0)
	v_cmp_neq_f32_e32 vcc, s13, v19
	v_cmp_neq_f32_e64 s[0:1], s13, v20
	s_and_b64 s[0:1], vcc, s[0:1]
	s_and_saveexec_b64 s[34:35], s[0:1]
	s_cbranch_execz .LBB78_7
; %bb.15:                               ;   in Loop: Header=BB78_10 Depth=1
	v_cmp_o_f32_e32 vcc, v19, v20
	v_mov_b32_e32 v21, 2
	s_mov_b64 s[0:1], -1
	s_and_saveexec_b64 s[36:37], vcc
	s_cbranch_execz .LBB78_6
; %bb.16:                               ;   in Loop: Header=BB78_10 Depth=1
	s_and_b64 vcc, exec, s[20:21]
	s_cbranch_vccz .LBB78_19
; %bb.17:                               ;   in Loop: Header=BB78_10 Depth=1
	s_and_b64 vcc, exec, s[22:23]
	s_cbranch_vccz .LBB78_20
; %bb.18:                               ;   in Loop: Header=BB78_10 Depth=1
	v_cmp_ge_i64_e32 vcc, v[17:18], v[1:2]
	s_mov_b32 s33, 7
	s_and_b64 s[2:3], vcc, exec
	s_cbranch_execz .LBB78_21
	s_branch .LBB78_22
.LBB78_19:                              ;   in Loop: Header=BB78_10 Depth=1
	s_mov_b32 s33, 2
	s_branch .LBB78_22
.LBB78_20:                              ;   in Loop: Header=BB78_10 Depth=1
	s_mov_b64 s[2:3], 0
	s_mov_b32 s33, 2
.LBB78_21:                              ;   in Loop: Header=BB78_10 Depth=1
	v_cmp_le_i64_e32 vcc, v[17:18], v[1:2]
	s_andn2_b64 s[2:3], s[2:3], exec
	s_and_b64 s[40:41], vcc, exec
	s_mov_b32 s33, 7
	s_or_b64 s[2:3], s[2:3], s[40:41]
.LBB78_22:                              ;   in Loop: Header=BB78_10 Depth=1
	v_mov_b32_e32 v21, s33
	s_mov_b64 s[42:43], -1
	s_and_saveexec_b64 s[40:41], s[2:3]
	s_cbranch_execz .LBB78_5
; %bb.23:                               ;   in Loop: Header=BB78_10 Depth=1
	s_nor_b64 s[0:1], s[14:15], s[38:39]
	s_mov_b64 s[38:39], -1
	v_mov_b32_e32 v21, s33
	s_mov_b64 s[44:45], -1
	s_and_saveexec_b64 s[42:43], s[0:1]
	s_cbranch_execz .LBB78_25
; %bb.24:                               ;   in Loop: Header=BB78_10 Depth=1
	global_load_dwordx2 v[17:18], v[11:12], off
	v_mov_b32_e32 v21, 6
	s_waitcnt vmcnt(0)
	v_subrev_co_u32_e32 v19, vcc, s12, v17
	v_subbrev_co_u32_e32 v20, vcc, 0, v18, vcc
	v_cmp_lt_i64_e32 vcc, -1, v[19:20]
	v_cmp_gt_i64_e64 s[0:1], s[18:19], v[19:20]
	v_cmp_gt_i64_e64 s[2:3], v[15:16], v[17:18]
	s_and_b64 s[0:1], vcc, s[0:1]
	s_xor_b64 s[0:1], s[0:1], -1
	s_or_b64 s[0:1], s[2:3], s[0:1]
	s_orn2_b64 s[44:45], s[0:1], exec
.LBB78_25:                              ;   in Loop: Header=BB78_10 Depth=1
	s_or_b64 exec, exec, s[42:43]
	s_mov_b64 s[2:3], -1
	s_and_saveexec_b64 s[0:1], s[44:45]
	s_cbranch_execz .LBB78_4
; %bb.26:                               ;   in Loop: Header=BB78_10 Depth=1
	v_add_co_u32_e32 v7, vcc, 16, v7
	v_addc_co_u32_e32 v8, vcc, 0, v8, vcc
	v_add_co_u32_e32 v9, vcc, 0x80, v9
	v_addc_co_u32_e32 v10, vcc, 0, v10, vcc
	;; [unrolled: 2-line block ×4, first 2 shown]
	v_cmp_ge_i64_e32 vcc, v[7:8], v[5:6]
	s_xor_b64 s[2:3], exec, -1
	s_orn2_b64 s[38:39], vcc, exec
	s_branch .LBB78_4
.LBB78_27:
	s_or_b64 exec, exec, s[8:9]
	s_and_b64 s[8:9], s[10:11], exec
.LBB78_28:
	s_or_b64 exec, exec, s[16:17]
	s_orn2_b64 s[10:11], s[8:9], exec
.LBB78_29:
	s_or_b64 exec, exec, s[6:7]
	s_and_b64 exec, exec, s[10:11]
	s_cbranch_execz .LBB78_31
; %bb.30:
	s_load_dwordx2 s[0:1], s[4:5], 0x48
	v_mov_b32_e32 v0, 0
	s_waitcnt lgkmcnt(0)
	global_store_dword v0, v21, s[0:1]
.LBB78_31:
	s_endpgm
	.section	.rodata,"a",@progbits
	.p2align	6, 0x0
	.amdhsa_kernel _ZN9rocsparseL23check_matrix_csr_deviceILj256ELj16E21rocsparse_complex_numIfEllEEvT3_S3_T2_PKT1_PKS4_PKS3_SB_21rocsparse_index_base_22rocsparse_matrix_type_20rocsparse_fill_mode_23rocsparse_storage_mode_P22rocsparse_data_status_
		.amdhsa_group_segment_fixed_size 0
		.amdhsa_private_segment_fixed_size 0
		.amdhsa_kernarg_size 80
		.amdhsa_user_sgpr_count 6
		.amdhsa_user_sgpr_private_segment_buffer 1
		.amdhsa_user_sgpr_dispatch_ptr 0
		.amdhsa_user_sgpr_queue_ptr 0
		.amdhsa_user_sgpr_kernarg_segment_ptr 1
		.amdhsa_user_sgpr_dispatch_id 0
		.amdhsa_user_sgpr_flat_scratch_init 0
		.amdhsa_user_sgpr_private_segment_size 0
		.amdhsa_uses_dynamic_stack 0
		.amdhsa_system_sgpr_private_segment_wavefront_offset 0
		.amdhsa_system_sgpr_workgroup_id_x 1
		.amdhsa_system_sgpr_workgroup_id_y 0
		.amdhsa_system_sgpr_workgroup_id_z 0
		.amdhsa_system_sgpr_workgroup_info 0
		.amdhsa_system_vgpr_workitem_id 0
		.amdhsa_next_free_vgpr 25
		.amdhsa_next_free_sgpr 46
		.amdhsa_reserve_vcc 1
		.amdhsa_reserve_flat_scratch 0
		.amdhsa_float_round_mode_32 0
		.amdhsa_float_round_mode_16_64 0
		.amdhsa_float_denorm_mode_32 3
		.amdhsa_float_denorm_mode_16_64 3
		.amdhsa_dx10_clamp 1
		.amdhsa_ieee_mode 1
		.amdhsa_fp16_overflow 0
		.amdhsa_exception_fp_ieee_invalid_op 0
		.amdhsa_exception_fp_denorm_src 0
		.amdhsa_exception_fp_ieee_div_zero 0
		.amdhsa_exception_fp_ieee_overflow 0
		.amdhsa_exception_fp_ieee_underflow 0
		.amdhsa_exception_fp_ieee_inexact 0
		.amdhsa_exception_int_div_zero 0
	.end_amdhsa_kernel
	.section	.text._ZN9rocsparseL23check_matrix_csr_deviceILj256ELj16E21rocsparse_complex_numIfEllEEvT3_S3_T2_PKT1_PKS4_PKS3_SB_21rocsparse_index_base_22rocsparse_matrix_type_20rocsparse_fill_mode_23rocsparse_storage_mode_P22rocsparse_data_status_,"axG",@progbits,_ZN9rocsparseL23check_matrix_csr_deviceILj256ELj16E21rocsparse_complex_numIfEllEEvT3_S3_T2_PKT1_PKS4_PKS3_SB_21rocsparse_index_base_22rocsparse_matrix_type_20rocsparse_fill_mode_23rocsparse_storage_mode_P22rocsparse_data_status_,comdat
.Lfunc_end78:
	.size	_ZN9rocsparseL23check_matrix_csr_deviceILj256ELj16E21rocsparse_complex_numIfEllEEvT3_S3_T2_PKT1_PKS4_PKS3_SB_21rocsparse_index_base_22rocsparse_matrix_type_20rocsparse_fill_mode_23rocsparse_storage_mode_P22rocsparse_data_status_, .Lfunc_end78-_ZN9rocsparseL23check_matrix_csr_deviceILj256ELj16E21rocsparse_complex_numIfEllEEvT3_S3_T2_PKT1_PKS4_PKS3_SB_21rocsparse_index_base_22rocsparse_matrix_type_20rocsparse_fill_mode_23rocsparse_storage_mode_P22rocsparse_data_status_
                                        ; -- End function
	.set _ZN9rocsparseL23check_matrix_csr_deviceILj256ELj16E21rocsparse_complex_numIfEllEEvT3_S3_T2_PKT1_PKS4_PKS3_SB_21rocsparse_index_base_22rocsparse_matrix_type_20rocsparse_fill_mode_23rocsparse_storage_mode_P22rocsparse_data_status_.num_vgpr, 25
	.set _ZN9rocsparseL23check_matrix_csr_deviceILj256ELj16E21rocsparse_complex_numIfEllEEvT3_S3_T2_PKT1_PKS4_PKS3_SB_21rocsparse_index_base_22rocsparse_matrix_type_20rocsparse_fill_mode_23rocsparse_storage_mode_P22rocsparse_data_status_.num_agpr, 0
	.set _ZN9rocsparseL23check_matrix_csr_deviceILj256ELj16E21rocsparse_complex_numIfEllEEvT3_S3_T2_PKT1_PKS4_PKS3_SB_21rocsparse_index_base_22rocsparse_matrix_type_20rocsparse_fill_mode_23rocsparse_storage_mode_P22rocsparse_data_status_.numbered_sgpr, 46
	.set _ZN9rocsparseL23check_matrix_csr_deviceILj256ELj16E21rocsparse_complex_numIfEllEEvT3_S3_T2_PKT1_PKS4_PKS3_SB_21rocsparse_index_base_22rocsparse_matrix_type_20rocsparse_fill_mode_23rocsparse_storage_mode_P22rocsparse_data_status_.num_named_barrier, 0
	.set _ZN9rocsparseL23check_matrix_csr_deviceILj256ELj16E21rocsparse_complex_numIfEllEEvT3_S3_T2_PKT1_PKS4_PKS3_SB_21rocsparse_index_base_22rocsparse_matrix_type_20rocsparse_fill_mode_23rocsparse_storage_mode_P22rocsparse_data_status_.private_seg_size, 0
	.set _ZN9rocsparseL23check_matrix_csr_deviceILj256ELj16E21rocsparse_complex_numIfEllEEvT3_S3_T2_PKT1_PKS4_PKS3_SB_21rocsparse_index_base_22rocsparse_matrix_type_20rocsparse_fill_mode_23rocsparse_storage_mode_P22rocsparse_data_status_.uses_vcc, 1
	.set _ZN9rocsparseL23check_matrix_csr_deviceILj256ELj16E21rocsparse_complex_numIfEllEEvT3_S3_T2_PKT1_PKS4_PKS3_SB_21rocsparse_index_base_22rocsparse_matrix_type_20rocsparse_fill_mode_23rocsparse_storage_mode_P22rocsparse_data_status_.uses_flat_scratch, 0
	.set _ZN9rocsparseL23check_matrix_csr_deviceILj256ELj16E21rocsparse_complex_numIfEllEEvT3_S3_T2_PKT1_PKS4_PKS3_SB_21rocsparse_index_base_22rocsparse_matrix_type_20rocsparse_fill_mode_23rocsparse_storage_mode_P22rocsparse_data_status_.has_dyn_sized_stack, 0
	.set _ZN9rocsparseL23check_matrix_csr_deviceILj256ELj16E21rocsparse_complex_numIfEllEEvT3_S3_T2_PKT1_PKS4_PKS3_SB_21rocsparse_index_base_22rocsparse_matrix_type_20rocsparse_fill_mode_23rocsparse_storage_mode_P22rocsparse_data_status_.has_recursion, 0
	.set _ZN9rocsparseL23check_matrix_csr_deviceILj256ELj16E21rocsparse_complex_numIfEllEEvT3_S3_T2_PKT1_PKS4_PKS3_SB_21rocsparse_index_base_22rocsparse_matrix_type_20rocsparse_fill_mode_23rocsparse_storage_mode_P22rocsparse_data_status_.has_indirect_call, 0
	.section	.AMDGPU.csdata,"",@progbits
; Kernel info:
; codeLenInByte = 952
; TotalNumSgprs: 50
; NumVgprs: 25
; ScratchSize: 0
; MemoryBound: 0
; FloatMode: 240
; IeeeMode: 1
; LDSByteSize: 0 bytes/workgroup (compile time only)
; SGPRBlocks: 6
; VGPRBlocks: 6
; NumSGPRsForWavesPerEU: 50
; NumVGPRsForWavesPerEU: 25
; Occupancy: 9
; WaveLimiterHint : 0
; COMPUTE_PGM_RSRC2:SCRATCH_EN: 0
; COMPUTE_PGM_RSRC2:USER_SGPR: 6
; COMPUTE_PGM_RSRC2:TRAP_HANDLER: 0
; COMPUTE_PGM_RSRC2:TGID_X_EN: 1
; COMPUTE_PGM_RSRC2:TGID_Y_EN: 0
; COMPUTE_PGM_RSRC2:TGID_Z_EN: 0
; COMPUTE_PGM_RSRC2:TIDIG_COMP_CNT: 0
	.section	.text._ZN9rocsparseL23check_matrix_csr_deviceILj256ELj32E21rocsparse_complex_numIfEllEEvT3_S3_T2_PKT1_PKS4_PKS3_SB_21rocsparse_index_base_22rocsparse_matrix_type_20rocsparse_fill_mode_23rocsparse_storage_mode_P22rocsparse_data_status_,"axG",@progbits,_ZN9rocsparseL23check_matrix_csr_deviceILj256ELj32E21rocsparse_complex_numIfEllEEvT3_S3_T2_PKT1_PKS4_PKS3_SB_21rocsparse_index_base_22rocsparse_matrix_type_20rocsparse_fill_mode_23rocsparse_storage_mode_P22rocsparse_data_status_,comdat
	.globl	_ZN9rocsparseL23check_matrix_csr_deviceILj256ELj32E21rocsparse_complex_numIfEllEEvT3_S3_T2_PKT1_PKS4_PKS3_SB_21rocsparse_index_base_22rocsparse_matrix_type_20rocsparse_fill_mode_23rocsparse_storage_mode_P22rocsparse_data_status_ ; -- Begin function _ZN9rocsparseL23check_matrix_csr_deviceILj256ELj32E21rocsparse_complex_numIfEllEEvT3_S3_T2_PKT1_PKS4_PKS3_SB_21rocsparse_index_base_22rocsparse_matrix_type_20rocsparse_fill_mode_23rocsparse_storage_mode_P22rocsparse_data_status_
	.p2align	8
	.type	_ZN9rocsparseL23check_matrix_csr_deviceILj256ELj32E21rocsparse_complex_numIfEllEEvT3_S3_T2_PKT1_PKS4_PKS3_SB_21rocsparse_index_base_22rocsparse_matrix_type_20rocsparse_fill_mode_23rocsparse_storage_mode_P22rocsparse_data_status_,@function
_ZN9rocsparseL23check_matrix_csr_deviceILj256ELj32E21rocsparse_complex_numIfEllEEvT3_S3_T2_PKT1_PKS4_PKS3_SB_21rocsparse_index_base_22rocsparse_matrix_type_20rocsparse_fill_mode_23rocsparse_storage_mode_P22rocsparse_data_status_: ; @_ZN9rocsparseL23check_matrix_csr_deviceILj256ELj32E21rocsparse_complex_numIfEllEEvT3_S3_T2_PKT1_PKS4_PKS3_SB_21rocsparse_index_base_22rocsparse_matrix_type_20rocsparse_fill_mode_23rocsparse_storage_mode_P22rocsparse_data_status_
; %bb.0:
	s_load_dwordx4 s[16:19], s[4:5], 0x0
	v_lshl_or_b32 v1, s6, 8, v0
	v_lshrrev_b32_e32 v1, 5, v1
	v_mov_b32_e32 v2, 0
	s_waitcnt lgkmcnt(0)
	v_cmp_gt_i64_e32 vcc, s[16:17], v[1:2]
	s_and_saveexec_b64 s[0:1], vcc
	s_cbranch_execz .LBB79_31
; %bb.1:
	s_load_dwordx2 s[0:1], s[4:5], 0x20
	v_lshlrev_b32_e32 v3, 3, v1
	v_mov_b32_e32 v21, 3
	s_mov_b64 s[10:11], -1
	s_mov_b64 s[8:9], 0
	s_waitcnt lgkmcnt(0)
	global_load_dwordx4 v[7:10], v3, s[0:1]
	s_load_dwordx2 s[0:1], s[0:1], 0x0
	s_waitcnt lgkmcnt(0)
	v_mov_b32_e32 v6, s1
	s_waitcnt vmcnt(0)
	v_subrev_co_u32_e32 v3, vcc, s0, v7
	v_subb_co_u32_e32 v4, vcc, v8, v6, vcc
	v_subrev_co_u32_e32 v5, vcc, s0, v9
	v_subb_co_u32_e32 v6, vcc, v10, v6, vcc
	v_cmp_gt_i64_e64 s[0:1], 0, v[5:6]
	v_cmp_lt_i64_e64 s[2:3], v[9:10], v[7:8]
	v_cmp_lt_i64_e32 vcc, -1, v[3:4]
	s_or_b64 s[0:1], s[0:1], s[2:3]
	s_xor_b64 s[0:1], s[0:1], -1
	s_and_b64 s[0:1], vcc, s[0:1]
	s_and_saveexec_b64 s[6:7], s[0:1]
	s_cbranch_execz .LBB79_29
; %bb.2:
	v_and_b32_e32 v0, 31, v0
	v_add_co_u32_e32 v7, vcc, v3, v0
	v_addc_co_u32_e32 v8, vcc, 0, v4, vcc
	v_cmp_lt_u64_e32 vcc, v[7:8], v[5:6]
	v_mov_b32_e32 v21, 3
	s_and_saveexec_b64 s[16:17], vcc
	s_cbranch_execz .LBB79_28
; %bb.3:
	s_load_dwordx8 s[8:15], s[4:5], 0x28
	s_load_dwordx2 s[0:1], s[4:5], 0x18
	v_lshlrev_b64 v[13:14], 3, v[7:8]
                                        ; implicit-def: $sgpr24_sgpr25
                                        ; implicit-def: $sgpr26_sgpr27
	v_add_co_u32_e32 v0, vcc, -8, v13
	v_addc_co_u32_e32 v12, vcc, -1, v14, vcc
	s_waitcnt lgkmcnt(0)
	v_mov_b32_e32 v10, s11
	v_add_co_u32_e32 v9, vcc, s10, v0
	v_addc_co_u32_e32 v10, vcc, v10, v12, vcc
	v_mov_b32_e32 v15, s9
	v_add_co_u32_e32 v11, vcc, s8, v0
	v_addc_co_u32_e32 v12, vcc, v15, v12, vcc
	s_cmp_lg_u32 s13, 0
	v_mov_b32_e32 v0, s1
	v_add_co_u32_e32 v13, vcc, s0, v13
	s_cselect_b64 s[20:21], -1, 0
	s_cmp_lg_u32 s14, 0
	v_addc_co_u32_e32 v0, vcc, v0, v14, vcc
	s_cselect_b64 s[22:23], -1, 0
	s_cmp_lg_u32 s15, 0
	v_add_co_u32_e32 v13, vcc, 4, v13
	s_cselect_b64 s[14:15], -1, 0
	v_addc_co_u32_e32 v14, vcc, 0, v0, vcc
	s_mov_b64 s[8:9], 0
	s_mov_b32 s13, 0x7f800000
                                        ; implicit-def: $sgpr10_sgpr11
	s_branch .LBB79_10
.LBB79_4:                               ;   in Loop: Header=BB79_10 Depth=1
	s_or_b64 exec, exec, s[0:1]
	s_orn2_b64 s[42:43], s[2:3], exec
	s_orn2_b64 s[0:1], s[38:39], exec
.LBB79_5:                               ;   in Loop: Header=BB79_10 Depth=1
	s_or_b64 exec, exec, s[40:41]
	s_orn2_b64 s[2:3], s[42:43], exec
	s_orn2_b64 s[0:1], s[0:1], exec
.LBB79_6:                               ;   in Loop: Header=BB79_10 Depth=1
	s_or_b64 exec, exec, s[36:37]
	s_orn2_b64 s[36:37], s[2:3], exec
	s_orn2_b64 s[2:3], s[0:1], exec
.LBB79_7:                               ;   in Loop: Header=BB79_10 Depth=1
	s_or_b64 exec, exec, s[34:35]
	s_orn2_b64 s[34:35], s[36:37], exec
	s_orn2_b64 s[0:1], s[2:3], exec
.LBB79_8:                               ;   in Loop: Header=BB79_10 Depth=1
	s_or_b64 exec, exec, s[30:31]
	s_andn2_b64 s[2:3], s[26:27], exec
	s_and_b64 s[26:27], s[34:35], exec
	s_or_b64 s[26:27], s[2:3], s[26:27]
	s_andn2_b64 s[2:3], s[24:25], exec
	s_and_b64 s[0:1], s[0:1], exec
	s_or_b64 s[24:25], s[2:3], s[0:1]
.LBB79_9:                               ;   in Loop: Header=BB79_10 Depth=1
	s_or_b64 exec, exec, s[28:29]
	s_and_b64 s[0:1], exec, s[24:25]
	s_or_b64 s[8:9], s[0:1], s[8:9]
	s_andn2_b64 s[0:1], s[10:11], exec
	s_and_b64 s[2:3], s[26:27], exec
	s_or_b64 s[10:11], s[0:1], s[2:3]
	s_andn2_b64 exec, exec, s[8:9]
	s_cbranch_execz .LBB79_27
.LBB79_10:                              ; =>This Inner Loop Header: Depth=1
	global_load_dwordx2 v[15:16], v[11:12], off offset:8
	v_mov_b32_e32 v21, 4
	s_or_b64 s[26:27], s[26:27], exec
	s_or_b64 s[24:25], s[24:25], exec
	s_waitcnt vmcnt(0)
	v_subrev_co_u32_e32 v17, vcc, s12, v15
	v_subbrev_co_u32_e32 v18, vcc, 0, v16, vcc
	v_cmp_lt_i64_e32 vcc, -1, v[17:18]
	v_cmp_gt_i64_e64 s[0:1], s[18:19], v[17:18]
	s_and_b64 s[0:1], vcc, s[0:1]
	s_and_saveexec_b64 s[28:29], s[0:1]
	s_cbranch_execz .LBB79_9
; %bb.11:                               ;   in Loop: Header=BB79_10 Depth=1
	v_cmp_le_i64_e64 s[38:39], v[7:8], v[3:4]
	v_cmp_gt_i64_e32 vcc, v[7:8], v[3:4]
	v_mov_b32_e32 v21, 4
	s_mov_b64 s[2:3], s[38:39]
	s_and_saveexec_b64 s[30:31], vcc
	s_cbranch_execz .LBB79_13
; %bb.12:                               ;   in Loop: Header=BB79_10 Depth=1
	global_load_dwordx4 v[19:22], v[9:10], off
	s_waitcnt vmcnt(0)
	v_subrev_co_u32_e32 v23, vcc, s12, v19
	v_subbrev_co_u32_e32 v24, vcc, 0, v20, vcc
	v_cmp_lt_i64_e64 s[0:1], -1, v[23:24]
	v_cmp_gt_i64_e64 s[2:3], s[18:19], v[23:24]
	v_cmp_ne_u64_e32 vcc, v[21:22], v[19:20]
	s_and_b64 s[0:1], s[0:1], s[2:3]
	s_xor_b64 s[0:1], s[0:1], -1
	s_or_b64 s[0:1], vcc, s[0:1]
	s_andn2_b64 s[2:3], s[38:39], exec
	s_and_b64 s[0:1], s[0:1], exec
	v_mov_b32_e32 v21, 5
	s_or_b64 s[2:3], s[2:3], s[0:1]
.LBB79_13:                              ;   in Loop: Header=BB79_10 Depth=1
	s_or_b64 exec, exec, s[30:31]
	s_mov_b64 s[0:1], -1
	s_mov_b64 s[34:35], -1
	s_and_saveexec_b64 s[30:31], s[2:3]
	s_cbranch_execz .LBB79_8
; %bb.14:                               ;   in Loop: Header=BB79_10 Depth=1
	global_load_dwordx2 v[19:20], v[13:14], off offset:-4
	v_mov_b32_e32 v21, 1
	s_mov_b64 s[2:3], -1
	s_mov_b64 s[36:37], -1
	s_waitcnt vmcnt(0)
	v_cmp_neq_f32_e32 vcc, s13, v19
	v_cmp_neq_f32_e64 s[0:1], s13, v20
	s_and_b64 s[0:1], vcc, s[0:1]
	s_and_saveexec_b64 s[34:35], s[0:1]
	s_cbranch_execz .LBB79_7
; %bb.15:                               ;   in Loop: Header=BB79_10 Depth=1
	v_cmp_o_f32_e32 vcc, v19, v20
	v_mov_b32_e32 v21, 2
	s_mov_b64 s[0:1], -1
	s_and_saveexec_b64 s[36:37], vcc
	s_cbranch_execz .LBB79_6
; %bb.16:                               ;   in Loop: Header=BB79_10 Depth=1
	s_and_b64 vcc, exec, s[20:21]
	s_cbranch_vccz .LBB79_19
; %bb.17:                               ;   in Loop: Header=BB79_10 Depth=1
	s_and_b64 vcc, exec, s[22:23]
	s_cbranch_vccz .LBB79_20
; %bb.18:                               ;   in Loop: Header=BB79_10 Depth=1
	v_cmp_ge_i64_e32 vcc, v[17:18], v[1:2]
	s_mov_b32 s33, 7
	s_and_b64 s[2:3], vcc, exec
	s_cbranch_execz .LBB79_21
	s_branch .LBB79_22
.LBB79_19:                              ;   in Loop: Header=BB79_10 Depth=1
	s_mov_b32 s33, 2
	s_branch .LBB79_22
.LBB79_20:                              ;   in Loop: Header=BB79_10 Depth=1
	s_mov_b64 s[2:3], 0
	s_mov_b32 s33, 2
.LBB79_21:                              ;   in Loop: Header=BB79_10 Depth=1
	v_cmp_le_i64_e32 vcc, v[17:18], v[1:2]
	s_andn2_b64 s[2:3], s[2:3], exec
	s_and_b64 s[40:41], vcc, exec
	s_mov_b32 s33, 7
	s_or_b64 s[2:3], s[2:3], s[40:41]
.LBB79_22:                              ;   in Loop: Header=BB79_10 Depth=1
	v_mov_b32_e32 v21, s33
	s_mov_b64 s[42:43], -1
	s_and_saveexec_b64 s[40:41], s[2:3]
	s_cbranch_execz .LBB79_5
; %bb.23:                               ;   in Loop: Header=BB79_10 Depth=1
	s_nor_b64 s[0:1], s[14:15], s[38:39]
	s_mov_b64 s[38:39], -1
	v_mov_b32_e32 v21, s33
	s_mov_b64 s[44:45], -1
	s_and_saveexec_b64 s[42:43], s[0:1]
	s_cbranch_execz .LBB79_25
; %bb.24:                               ;   in Loop: Header=BB79_10 Depth=1
	global_load_dwordx2 v[17:18], v[11:12], off
	v_mov_b32_e32 v21, 6
	s_waitcnt vmcnt(0)
	v_subrev_co_u32_e32 v19, vcc, s12, v17
	v_subbrev_co_u32_e32 v20, vcc, 0, v18, vcc
	v_cmp_lt_i64_e32 vcc, -1, v[19:20]
	v_cmp_gt_i64_e64 s[0:1], s[18:19], v[19:20]
	v_cmp_gt_i64_e64 s[2:3], v[15:16], v[17:18]
	s_and_b64 s[0:1], vcc, s[0:1]
	s_xor_b64 s[0:1], s[0:1], -1
	s_or_b64 s[0:1], s[2:3], s[0:1]
	s_orn2_b64 s[44:45], s[0:1], exec
.LBB79_25:                              ;   in Loop: Header=BB79_10 Depth=1
	s_or_b64 exec, exec, s[42:43]
	s_mov_b64 s[2:3], -1
	s_and_saveexec_b64 s[0:1], s[44:45]
	s_cbranch_execz .LBB79_4
; %bb.26:                               ;   in Loop: Header=BB79_10 Depth=1
	v_add_co_u32_e32 v7, vcc, 32, v7
	v_addc_co_u32_e32 v8, vcc, 0, v8, vcc
	v_add_co_u32_e32 v9, vcc, 0x100, v9
	v_addc_co_u32_e32 v10, vcc, 0, v10, vcc
	;; [unrolled: 2-line block ×4, first 2 shown]
	v_cmp_ge_i64_e32 vcc, v[7:8], v[5:6]
	s_xor_b64 s[2:3], exec, -1
	s_orn2_b64 s[38:39], vcc, exec
	s_branch .LBB79_4
.LBB79_27:
	s_or_b64 exec, exec, s[8:9]
	s_and_b64 s[8:9], s[10:11], exec
.LBB79_28:
	s_or_b64 exec, exec, s[16:17]
	s_orn2_b64 s[10:11], s[8:9], exec
.LBB79_29:
	s_or_b64 exec, exec, s[6:7]
	s_and_b64 exec, exec, s[10:11]
	s_cbranch_execz .LBB79_31
; %bb.30:
	s_load_dwordx2 s[0:1], s[4:5], 0x48
	v_mov_b32_e32 v0, 0
	s_waitcnt lgkmcnt(0)
	global_store_dword v0, v21, s[0:1]
.LBB79_31:
	s_endpgm
	.section	.rodata,"a",@progbits
	.p2align	6, 0x0
	.amdhsa_kernel _ZN9rocsparseL23check_matrix_csr_deviceILj256ELj32E21rocsparse_complex_numIfEllEEvT3_S3_T2_PKT1_PKS4_PKS3_SB_21rocsparse_index_base_22rocsparse_matrix_type_20rocsparse_fill_mode_23rocsparse_storage_mode_P22rocsparse_data_status_
		.amdhsa_group_segment_fixed_size 0
		.amdhsa_private_segment_fixed_size 0
		.amdhsa_kernarg_size 80
		.amdhsa_user_sgpr_count 6
		.amdhsa_user_sgpr_private_segment_buffer 1
		.amdhsa_user_sgpr_dispatch_ptr 0
		.amdhsa_user_sgpr_queue_ptr 0
		.amdhsa_user_sgpr_kernarg_segment_ptr 1
		.amdhsa_user_sgpr_dispatch_id 0
		.amdhsa_user_sgpr_flat_scratch_init 0
		.amdhsa_user_sgpr_private_segment_size 0
		.amdhsa_uses_dynamic_stack 0
		.amdhsa_system_sgpr_private_segment_wavefront_offset 0
		.amdhsa_system_sgpr_workgroup_id_x 1
		.amdhsa_system_sgpr_workgroup_id_y 0
		.amdhsa_system_sgpr_workgroup_id_z 0
		.amdhsa_system_sgpr_workgroup_info 0
		.amdhsa_system_vgpr_workitem_id 0
		.amdhsa_next_free_vgpr 25
		.amdhsa_next_free_sgpr 46
		.amdhsa_reserve_vcc 1
		.amdhsa_reserve_flat_scratch 0
		.amdhsa_float_round_mode_32 0
		.amdhsa_float_round_mode_16_64 0
		.amdhsa_float_denorm_mode_32 3
		.amdhsa_float_denorm_mode_16_64 3
		.amdhsa_dx10_clamp 1
		.amdhsa_ieee_mode 1
		.amdhsa_fp16_overflow 0
		.amdhsa_exception_fp_ieee_invalid_op 0
		.amdhsa_exception_fp_denorm_src 0
		.amdhsa_exception_fp_ieee_div_zero 0
		.amdhsa_exception_fp_ieee_overflow 0
		.amdhsa_exception_fp_ieee_underflow 0
		.amdhsa_exception_fp_ieee_inexact 0
		.amdhsa_exception_int_div_zero 0
	.end_amdhsa_kernel
	.section	.text._ZN9rocsparseL23check_matrix_csr_deviceILj256ELj32E21rocsparse_complex_numIfEllEEvT3_S3_T2_PKT1_PKS4_PKS3_SB_21rocsparse_index_base_22rocsparse_matrix_type_20rocsparse_fill_mode_23rocsparse_storage_mode_P22rocsparse_data_status_,"axG",@progbits,_ZN9rocsparseL23check_matrix_csr_deviceILj256ELj32E21rocsparse_complex_numIfEllEEvT3_S3_T2_PKT1_PKS4_PKS3_SB_21rocsparse_index_base_22rocsparse_matrix_type_20rocsparse_fill_mode_23rocsparse_storage_mode_P22rocsparse_data_status_,comdat
.Lfunc_end79:
	.size	_ZN9rocsparseL23check_matrix_csr_deviceILj256ELj32E21rocsparse_complex_numIfEllEEvT3_S3_T2_PKT1_PKS4_PKS3_SB_21rocsparse_index_base_22rocsparse_matrix_type_20rocsparse_fill_mode_23rocsparse_storage_mode_P22rocsparse_data_status_, .Lfunc_end79-_ZN9rocsparseL23check_matrix_csr_deviceILj256ELj32E21rocsparse_complex_numIfEllEEvT3_S3_T2_PKT1_PKS4_PKS3_SB_21rocsparse_index_base_22rocsparse_matrix_type_20rocsparse_fill_mode_23rocsparse_storage_mode_P22rocsparse_data_status_
                                        ; -- End function
	.set _ZN9rocsparseL23check_matrix_csr_deviceILj256ELj32E21rocsparse_complex_numIfEllEEvT3_S3_T2_PKT1_PKS4_PKS3_SB_21rocsparse_index_base_22rocsparse_matrix_type_20rocsparse_fill_mode_23rocsparse_storage_mode_P22rocsparse_data_status_.num_vgpr, 25
	.set _ZN9rocsparseL23check_matrix_csr_deviceILj256ELj32E21rocsparse_complex_numIfEllEEvT3_S3_T2_PKT1_PKS4_PKS3_SB_21rocsparse_index_base_22rocsparse_matrix_type_20rocsparse_fill_mode_23rocsparse_storage_mode_P22rocsparse_data_status_.num_agpr, 0
	.set _ZN9rocsparseL23check_matrix_csr_deviceILj256ELj32E21rocsparse_complex_numIfEllEEvT3_S3_T2_PKT1_PKS4_PKS3_SB_21rocsparse_index_base_22rocsparse_matrix_type_20rocsparse_fill_mode_23rocsparse_storage_mode_P22rocsparse_data_status_.numbered_sgpr, 46
	.set _ZN9rocsparseL23check_matrix_csr_deviceILj256ELj32E21rocsparse_complex_numIfEllEEvT3_S3_T2_PKT1_PKS4_PKS3_SB_21rocsparse_index_base_22rocsparse_matrix_type_20rocsparse_fill_mode_23rocsparse_storage_mode_P22rocsparse_data_status_.num_named_barrier, 0
	.set _ZN9rocsparseL23check_matrix_csr_deviceILj256ELj32E21rocsparse_complex_numIfEllEEvT3_S3_T2_PKT1_PKS4_PKS3_SB_21rocsparse_index_base_22rocsparse_matrix_type_20rocsparse_fill_mode_23rocsparse_storage_mode_P22rocsparse_data_status_.private_seg_size, 0
	.set _ZN9rocsparseL23check_matrix_csr_deviceILj256ELj32E21rocsparse_complex_numIfEllEEvT3_S3_T2_PKT1_PKS4_PKS3_SB_21rocsparse_index_base_22rocsparse_matrix_type_20rocsparse_fill_mode_23rocsparse_storage_mode_P22rocsparse_data_status_.uses_vcc, 1
	.set _ZN9rocsparseL23check_matrix_csr_deviceILj256ELj32E21rocsparse_complex_numIfEllEEvT3_S3_T2_PKT1_PKS4_PKS3_SB_21rocsparse_index_base_22rocsparse_matrix_type_20rocsparse_fill_mode_23rocsparse_storage_mode_P22rocsparse_data_status_.uses_flat_scratch, 0
	.set _ZN9rocsparseL23check_matrix_csr_deviceILj256ELj32E21rocsparse_complex_numIfEllEEvT3_S3_T2_PKT1_PKS4_PKS3_SB_21rocsparse_index_base_22rocsparse_matrix_type_20rocsparse_fill_mode_23rocsparse_storage_mode_P22rocsparse_data_status_.has_dyn_sized_stack, 0
	.set _ZN9rocsparseL23check_matrix_csr_deviceILj256ELj32E21rocsparse_complex_numIfEllEEvT3_S3_T2_PKT1_PKS4_PKS3_SB_21rocsparse_index_base_22rocsparse_matrix_type_20rocsparse_fill_mode_23rocsparse_storage_mode_P22rocsparse_data_status_.has_recursion, 0
	.set _ZN9rocsparseL23check_matrix_csr_deviceILj256ELj32E21rocsparse_complex_numIfEllEEvT3_S3_T2_PKT1_PKS4_PKS3_SB_21rocsparse_index_base_22rocsparse_matrix_type_20rocsparse_fill_mode_23rocsparse_storage_mode_P22rocsparse_data_status_.has_indirect_call, 0
	.section	.AMDGPU.csdata,"",@progbits
; Kernel info:
; codeLenInByte = 952
; TotalNumSgprs: 50
; NumVgprs: 25
; ScratchSize: 0
; MemoryBound: 0
; FloatMode: 240
; IeeeMode: 1
; LDSByteSize: 0 bytes/workgroup (compile time only)
; SGPRBlocks: 6
; VGPRBlocks: 6
; NumSGPRsForWavesPerEU: 50
; NumVGPRsForWavesPerEU: 25
; Occupancy: 9
; WaveLimiterHint : 0
; COMPUTE_PGM_RSRC2:SCRATCH_EN: 0
; COMPUTE_PGM_RSRC2:USER_SGPR: 6
; COMPUTE_PGM_RSRC2:TRAP_HANDLER: 0
; COMPUTE_PGM_RSRC2:TGID_X_EN: 1
; COMPUTE_PGM_RSRC2:TGID_Y_EN: 0
; COMPUTE_PGM_RSRC2:TGID_Z_EN: 0
; COMPUTE_PGM_RSRC2:TIDIG_COMP_CNT: 0
	.section	.text._ZN9rocsparseL23check_matrix_csr_deviceILj256ELj64E21rocsparse_complex_numIfEllEEvT3_S3_T2_PKT1_PKS4_PKS3_SB_21rocsparse_index_base_22rocsparse_matrix_type_20rocsparse_fill_mode_23rocsparse_storage_mode_P22rocsparse_data_status_,"axG",@progbits,_ZN9rocsparseL23check_matrix_csr_deviceILj256ELj64E21rocsparse_complex_numIfEllEEvT3_S3_T2_PKT1_PKS4_PKS3_SB_21rocsparse_index_base_22rocsparse_matrix_type_20rocsparse_fill_mode_23rocsparse_storage_mode_P22rocsparse_data_status_,comdat
	.globl	_ZN9rocsparseL23check_matrix_csr_deviceILj256ELj64E21rocsparse_complex_numIfEllEEvT3_S3_T2_PKT1_PKS4_PKS3_SB_21rocsparse_index_base_22rocsparse_matrix_type_20rocsparse_fill_mode_23rocsparse_storage_mode_P22rocsparse_data_status_ ; -- Begin function _ZN9rocsparseL23check_matrix_csr_deviceILj256ELj64E21rocsparse_complex_numIfEllEEvT3_S3_T2_PKT1_PKS4_PKS3_SB_21rocsparse_index_base_22rocsparse_matrix_type_20rocsparse_fill_mode_23rocsparse_storage_mode_P22rocsparse_data_status_
	.p2align	8
	.type	_ZN9rocsparseL23check_matrix_csr_deviceILj256ELj64E21rocsparse_complex_numIfEllEEvT3_S3_T2_PKT1_PKS4_PKS3_SB_21rocsparse_index_base_22rocsparse_matrix_type_20rocsparse_fill_mode_23rocsparse_storage_mode_P22rocsparse_data_status_,@function
_ZN9rocsparseL23check_matrix_csr_deviceILj256ELj64E21rocsparse_complex_numIfEllEEvT3_S3_T2_PKT1_PKS4_PKS3_SB_21rocsparse_index_base_22rocsparse_matrix_type_20rocsparse_fill_mode_23rocsparse_storage_mode_P22rocsparse_data_status_: ; @_ZN9rocsparseL23check_matrix_csr_deviceILj256ELj64E21rocsparse_complex_numIfEllEEvT3_S3_T2_PKT1_PKS4_PKS3_SB_21rocsparse_index_base_22rocsparse_matrix_type_20rocsparse_fill_mode_23rocsparse_storage_mode_P22rocsparse_data_status_
; %bb.0:
	s_load_dwordx4 s[16:19], s[4:5], 0x0
	v_lshl_or_b32 v1, s6, 8, v0
	v_lshrrev_b32_e32 v1, 6, v1
	v_mov_b32_e32 v2, 0
	s_waitcnt lgkmcnt(0)
	v_cmp_gt_i64_e32 vcc, s[16:17], v[1:2]
	s_and_saveexec_b64 s[0:1], vcc
	s_cbranch_execz .LBB80_31
; %bb.1:
	s_load_dwordx2 s[0:1], s[4:5], 0x20
	v_lshlrev_b32_e32 v3, 3, v1
	v_mov_b32_e32 v21, 3
	s_mov_b64 s[10:11], -1
	s_mov_b64 s[8:9], 0
	s_waitcnt lgkmcnt(0)
	global_load_dwordx4 v[7:10], v3, s[0:1]
	s_load_dwordx2 s[0:1], s[0:1], 0x0
	s_waitcnt lgkmcnt(0)
	v_mov_b32_e32 v6, s1
	s_waitcnt vmcnt(0)
	v_subrev_co_u32_e32 v3, vcc, s0, v7
	v_subb_co_u32_e32 v4, vcc, v8, v6, vcc
	v_subrev_co_u32_e32 v5, vcc, s0, v9
	v_subb_co_u32_e32 v6, vcc, v10, v6, vcc
	v_cmp_gt_i64_e64 s[0:1], 0, v[5:6]
	v_cmp_lt_i64_e64 s[2:3], v[9:10], v[7:8]
	v_cmp_lt_i64_e32 vcc, -1, v[3:4]
	s_or_b64 s[0:1], s[0:1], s[2:3]
	s_xor_b64 s[0:1], s[0:1], -1
	s_and_b64 s[0:1], vcc, s[0:1]
	s_and_saveexec_b64 s[6:7], s[0:1]
	s_cbranch_execz .LBB80_29
; %bb.2:
	v_and_b32_e32 v0, 63, v0
	v_add_co_u32_e32 v7, vcc, v3, v0
	v_addc_co_u32_e32 v8, vcc, 0, v4, vcc
	v_cmp_lt_u64_e32 vcc, v[7:8], v[5:6]
	v_mov_b32_e32 v21, 3
	s_and_saveexec_b64 s[16:17], vcc
	s_cbranch_execz .LBB80_28
; %bb.3:
	s_load_dwordx8 s[8:15], s[4:5], 0x28
	s_load_dwordx2 s[0:1], s[4:5], 0x18
	v_lshlrev_b64 v[13:14], 3, v[7:8]
                                        ; implicit-def: $sgpr24_sgpr25
                                        ; implicit-def: $sgpr26_sgpr27
	v_add_co_u32_e32 v0, vcc, -8, v13
	v_addc_co_u32_e32 v12, vcc, -1, v14, vcc
	s_waitcnt lgkmcnt(0)
	v_mov_b32_e32 v10, s11
	v_add_co_u32_e32 v9, vcc, s10, v0
	v_addc_co_u32_e32 v10, vcc, v10, v12, vcc
	v_mov_b32_e32 v15, s9
	v_add_co_u32_e32 v11, vcc, s8, v0
	v_addc_co_u32_e32 v12, vcc, v15, v12, vcc
	s_cmp_lg_u32 s13, 0
	v_mov_b32_e32 v0, s1
	v_add_co_u32_e32 v13, vcc, s0, v13
	s_cselect_b64 s[20:21], -1, 0
	s_cmp_lg_u32 s14, 0
	v_addc_co_u32_e32 v0, vcc, v0, v14, vcc
	s_cselect_b64 s[22:23], -1, 0
	s_cmp_lg_u32 s15, 0
	v_add_co_u32_e32 v13, vcc, 4, v13
	s_cselect_b64 s[14:15], -1, 0
	v_addc_co_u32_e32 v14, vcc, 0, v0, vcc
	s_mov_b64 s[8:9], 0
	s_mov_b32 s13, 0x7f800000
                                        ; implicit-def: $sgpr10_sgpr11
	s_branch .LBB80_10
.LBB80_4:                               ;   in Loop: Header=BB80_10 Depth=1
	s_or_b64 exec, exec, s[0:1]
	s_orn2_b64 s[42:43], s[2:3], exec
	s_orn2_b64 s[0:1], s[38:39], exec
.LBB80_5:                               ;   in Loop: Header=BB80_10 Depth=1
	s_or_b64 exec, exec, s[40:41]
	s_orn2_b64 s[2:3], s[42:43], exec
	s_orn2_b64 s[0:1], s[0:1], exec
.LBB80_6:                               ;   in Loop: Header=BB80_10 Depth=1
	s_or_b64 exec, exec, s[36:37]
	s_orn2_b64 s[36:37], s[2:3], exec
	s_orn2_b64 s[2:3], s[0:1], exec
.LBB80_7:                               ;   in Loop: Header=BB80_10 Depth=1
	s_or_b64 exec, exec, s[34:35]
	s_orn2_b64 s[34:35], s[36:37], exec
	s_orn2_b64 s[0:1], s[2:3], exec
.LBB80_8:                               ;   in Loop: Header=BB80_10 Depth=1
	s_or_b64 exec, exec, s[30:31]
	s_andn2_b64 s[2:3], s[26:27], exec
	s_and_b64 s[26:27], s[34:35], exec
	s_or_b64 s[26:27], s[2:3], s[26:27]
	s_andn2_b64 s[2:3], s[24:25], exec
	s_and_b64 s[0:1], s[0:1], exec
	s_or_b64 s[24:25], s[2:3], s[0:1]
.LBB80_9:                               ;   in Loop: Header=BB80_10 Depth=1
	s_or_b64 exec, exec, s[28:29]
	s_and_b64 s[0:1], exec, s[24:25]
	s_or_b64 s[8:9], s[0:1], s[8:9]
	s_andn2_b64 s[0:1], s[10:11], exec
	s_and_b64 s[2:3], s[26:27], exec
	s_or_b64 s[10:11], s[0:1], s[2:3]
	s_andn2_b64 exec, exec, s[8:9]
	s_cbranch_execz .LBB80_27
.LBB80_10:                              ; =>This Inner Loop Header: Depth=1
	global_load_dwordx2 v[15:16], v[11:12], off offset:8
	v_mov_b32_e32 v21, 4
	s_or_b64 s[26:27], s[26:27], exec
	s_or_b64 s[24:25], s[24:25], exec
	s_waitcnt vmcnt(0)
	v_subrev_co_u32_e32 v17, vcc, s12, v15
	v_subbrev_co_u32_e32 v18, vcc, 0, v16, vcc
	v_cmp_lt_i64_e32 vcc, -1, v[17:18]
	v_cmp_gt_i64_e64 s[0:1], s[18:19], v[17:18]
	s_and_b64 s[0:1], vcc, s[0:1]
	s_and_saveexec_b64 s[28:29], s[0:1]
	s_cbranch_execz .LBB80_9
; %bb.11:                               ;   in Loop: Header=BB80_10 Depth=1
	v_cmp_le_i64_e64 s[38:39], v[7:8], v[3:4]
	v_cmp_gt_i64_e32 vcc, v[7:8], v[3:4]
	v_mov_b32_e32 v21, 4
	s_mov_b64 s[2:3], s[38:39]
	s_and_saveexec_b64 s[30:31], vcc
	s_cbranch_execz .LBB80_13
; %bb.12:                               ;   in Loop: Header=BB80_10 Depth=1
	global_load_dwordx4 v[19:22], v[9:10], off
	s_waitcnt vmcnt(0)
	v_subrev_co_u32_e32 v23, vcc, s12, v19
	v_subbrev_co_u32_e32 v24, vcc, 0, v20, vcc
	v_cmp_lt_i64_e64 s[0:1], -1, v[23:24]
	v_cmp_gt_i64_e64 s[2:3], s[18:19], v[23:24]
	v_cmp_ne_u64_e32 vcc, v[21:22], v[19:20]
	s_and_b64 s[0:1], s[0:1], s[2:3]
	s_xor_b64 s[0:1], s[0:1], -1
	s_or_b64 s[0:1], vcc, s[0:1]
	s_andn2_b64 s[2:3], s[38:39], exec
	s_and_b64 s[0:1], s[0:1], exec
	v_mov_b32_e32 v21, 5
	s_or_b64 s[2:3], s[2:3], s[0:1]
.LBB80_13:                              ;   in Loop: Header=BB80_10 Depth=1
	s_or_b64 exec, exec, s[30:31]
	s_mov_b64 s[0:1], -1
	s_mov_b64 s[34:35], -1
	s_and_saveexec_b64 s[30:31], s[2:3]
	s_cbranch_execz .LBB80_8
; %bb.14:                               ;   in Loop: Header=BB80_10 Depth=1
	global_load_dwordx2 v[19:20], v[13:14], off offset:-4
	v_mov_b32_e32 v21, 1
	s_mov_b64 s[2:3], -1
	s_mov_b64 s[36:37], -1
	s_waitcnt vmcnt(0)
	v_cmp_neq_f32_e32 vcc, s13, v19
	v_cmp_neq_f32_e64 s[0:1], s13, v20
	s_and_b64 s[0:1], vcc, s[0:1]
	s_and_saveexec_b64 s[34:35], s[0:1]
	s_cbranch_execz .LBB80_7
; %bb.15:                               ;   in Loop: Header=BB80_10 Depth=1
	v_cmp_o_f32_e32 vcc, v19, v20
	v_mov_b32_e32 v21, 2
	s_mov_b64 s[0:1], -1
	s_and_saveexec_b64 s[36:37], vcc
	s_cbranch_execz .LBB80_6
; %bb.16:                               ;   in Loop: Header=BB80_10 Depth=1
	s_and_b64 vcc, exec, s[20:21]
	s_cbranch_vccz .LBB80_19
; %bb.17:                               ;   in Loop: Header=BB80_10 Depth=1
	s_and_b64 vcc, exec, s[22:23]
	s_cbranch_vccz .LBB80_20
; %bb.18:                               ;   in Loop: Header=BB80_10 Depth=1
	v_cmp_ge_i64_e32 vcc, v[17:18], v[1:2]
	s_mov_b32 s33, 7
	s_and_b64 s[2:3], vcc, exec
	s_cbranch_execz .LBB80_21
	s_branch .LBB80_22
.LBB80_19:                              ;   in Loop: Header=BB80_10 Depth=1
	s_mov_b32 s33, 2
	s_branch .LBB80_22
.LBB80_20:                              ;   in Loop: Header=BB80_10 Depth=1
	s_mov_b64 s[2:3], 0
	s_mov_b32 s33, 2
.LBB80_21:                              ;   in Loop: Header=BB80_10 Depth=1
	v_cmp_le_i64_e32 vcc, v[17:18], v[1:2]
	s_andn2_b64 s[2:3], s[2:3], exec
	s_and_b64 s[40:41], vcc, exec
	s_mov_b32 s33, 7
	s_or_b64 s[2:3], s[2:3], s[40:41]
.LBB80_22:                              ;   in Loop: Header=BB80_10 Depth=1
	v_mov_b32_e32 v21, s33
	s_mov_b64 s[42:43], -1
	s_and_saveexec_b64 s[40:41], s[2:3]
	s_cbranch_execz .LBB80_5
; %bb.23:                               ;   in Loop: Header=BB80_10 Depth=1
	s_nor_b64 s[0:1], s[14:15], s[38:39]
	s_mov_b64 s[38:39], -1
	v_mov_b32_e32 v21, s33
	s_mov_b64 s[44:45], -1
	s_and_saveexec_b64 s[42:43], s[0:1]
	s_cbranch_execz .LBB80_25
; %bb.24:                               ;   in Loop: Header=BB80_10 Depth=1
	global_load_dwordx2 v[17:18], v[11:12], off
	v_mov_b32_e32 v21, 6
	s_waitcnt vmcnt(0)
	v_subrev_co_u32_e32 v19, vcc, s12, v17
	v_subbrev_co_u32_e32 v20, vcc, 0, v18, vcc
	v_cmp_lt_i64_e32 vcc, -1, v[19:20]
	v_cmp_gt_i64_e64 s[0:1], s[18:19], v[19:20]
	v_cmp_gt_i64_e64 s[2:3], v[15:16], v[17:18]
	s_and_b64 s[0:1], vcc, s[0:1]
	s_xor_b64 s[0:1], s[0:1], -1
	s_or_b64 s[0:1], s[2:3], s[0:1]
	s_orn2_b64 s[44:45], s[0:1], exec
.LBB80_25:                              ;   in Loop: Header=BB80_10 Depth=1
	s_or_b64 exec, exec, s[42:43]
	s_mov_b64 s[2:3], -1
	s_and_saveexec_b64 s[0:1], s[44:45]
	s_cbranch_execz .LBB80_4
; %bb.26:                               ;   in Loop: Header=BB80_10 Depth=1
	v_add_co_u32_e32 v7, vcc, 64, v7
	v_addc_co_u32_e32 v8, vcc, 0, v8, vcc
	v_add_co_u32_e32 v9, vcc, 0x200, v9
	v_addc_co_u32_e32 v10, vcc, 0, v10, vcc
	v_add_co_u32_e32 v11, vcc, 0x200, v11
	v_addc_co_u32_e32 v12, vcc, 0, v12, vcc
	v_add_co_u32_e32 v13, vcc, 0x200, v13
	v_addc_co_u32_e32 v14, vcc, 0, v14, vcc
	v_cmp_ge_i64_e32 vcc, v[7:8], v[5:6]
	s_xor_b64 s[2:3], exec, -1
	s_orn2_b64 s[38:39], vcc, exec
	s_branch .LBB80_4
.LBB80_27:
	s_or_b64 exec, exec, s[8:9]
	s_and_b64 s[8:9], s[10:11], exec
.LBB80_28:
	s_or_b64 exec, exec, s[16:17]
	s_orn2_b64 s[10:11], s[8:9], exec
.LBB80_29:
	s_or_b64 exec, exec, s[6:7]
	s_and_b64 exec, exec, s[10:11]
	s_cbranch_execz .LBB80_31
; %bb.30:
	s_load_dwordx2 s[0:1], s[4:5], 0x48
	v_mov_b32_e32 v0, 0
	s_waitcnt lgkmcnt(0)
	global_store_dword v0, v21, s[0:1]
.LBB80_31:
	s_endpgm
	.section	.rodata,"a",@progbits
	.p2align	6, 0x0
	.amdhsa_kernel _ZN9rocsparseL23check_matrix_csr_deviceILj256ELj64E21rocsparse_complex_numIfEllEEvT3_S3_T2_PKT1_PKS4_PKS3_SB_21rocsparse_index_base_22rocsparse_matrix_type_20rocsparse_fill_mode_23rocsparse_storage_mode_P22rocsparse_data_status_
		.amdhsa_group_segment_fixed_size 0
		.amdhsa_private_segment_fixed_size 0
		.amdhsa_kernarg_size 80
		.amdhsa_user_sgpr_count 6
		.amdhsa_user_sgpr_private_segment_buffer 1
		.amdhsa_user_sgpr_dispatch_ptr 0
		.amdhsa_user_sgpr_queue_ptr 0
		.amdhsa_user_sgpr_kernarg_segment_ptr 1
		.amdhsa_user_sgpr_dispatch_id 0
		.amdhsa_user_sgpr_flat_scratch_init 0
		.amdhsa_user_sgpr_private_segment_size 0
		.amdhsa_uses_dynamic_stack 0
		.amdhsa_system_sgpr_private_segment_wavefront_offset 0
		.amdhsa_system_sgpr_workgroup_id_x 1
		.amdhsa_system_sgpr_workgroup_id_y 0
		.amdhsa_system_sgpr_workgroup_id_z 0
		.amdhsa_system_sgpr_workgroup_info 0
		.amdhsa_system_vgpr_workitem_id 0
		.amdhsa_next_free_vgpr 25
		.amdhsa_next_free_sgpr 46
		.amdhsa_reserve_vcc 1
		.amdhsa_reserve_flat_scratch 0
		.amdhsa_float_round_mode_32 0
		.amdhsa_float_round_mode_16_64 0
		.amdhsa_float_denorm_mode_32 3
		.amdhsa_float_denorm_mode_16_64 3
		.amdhsa_dx10_clamp 1
		.amdhsa_ieee_mode 1
		.amdhsa_fp16_overflow 0
		.amdhsa_exception_fp_ieee_invalid_op 0
		.amdhsa_exception_fp_denorm_src 0
		.amdhsa_exception_fp_ieee_div_zero 0
		.amdhsa_exception_fp_ieee_overflow 0
		.amdhsa_exception_fp_ieee_underflow 0
		.amdhsa_exception_fp_ieee_inexact 0
		.amdhsa_exception_int_div_zero 0
	.end_amdhsa_kernel
	.section	.text._ZN9rocsparseL23check_matrix_csr_deviceILj256ELj64E21rocsparse_complex_numIfEllEEvT3_S3_T2_PKT1_PKS4_PKS3_SB_21rocsparse_index_base_22rocsparse_matrix_type_20rocsparse_fill_mode_23rocsparse_storage_mode_P22rocsparse_data_status_,"axG",@progbits,_ZN9rocsparseL23check_matrix_csr_deviceILj256ELj64E21rocsparse_complex_numIfEllEEvT3_S3_T2_PKT1_PKS4_PKS3_SB_21rocsparse_index_base_22rocsparse_matrix_type_20rocsparse_fill_mode_23rocsparse_storage_mode_P22rocsparse_data_status_,comdat
.Lfunc_end80:
	.size	_ZN9rocsparseL23check_matrix_csr_deviceILj256ELj64E21rocsparse_complex_numIfEllEEvT3_S3_T2_PKT1_PKS4_PKS3_SB_21rocsparse_index_base_22rocsparse_matrix_type_20rocsparse_fill_mode_23rocsparse_storage_mode_P22rocsparse_data_status_, .Lfunc_end80-_ZN9rocsparseL23check_matrix_csr_deviceILj256ELj64E21rocsparse_complex_numIfEllEEvT3_S3_T2_PKT1_PKS4_PKS3_SB_21rocsparse_index_base_22rocsparse_matrix_type_20rocsparse_fill_mode_23rocsparse_storage_mode_P22rocsparse_data_status_
                                        ; -- End function
	.set _ZN9rocsparseL23check_matrix_csr_deviceILj256ELj64E21rocsparse_complex_numIfEllEEvT3_S3_T2_PKT1_PKS4_PKS3_SB_21rocsparse_index_base_22rocsparse_matrix_type_20rocsparse_fill_mode_23rocsparse_storage_mode_P22rocsparse_data_status_.num_vgpr, 25
	.set _ZN9rocsparseL23check_matrix_csr_deviceILj256ELj64E21rocsparse_complex_numIfEllEEvT3_S3_T2_PKT1_PKS4_PKS3_SB_21rocsparse_index_base_22rocsparse_matrix_type_20rocsparse_fill_mode_23rocsparse_storage_mode_P22rocsparse_data_status_.num_agpr, 0
	.set _ZN9rocsparseL23check_matrix_csr_deviceILj256ELj64E21rocsparse_complex_numIfEllEEvT3_S3_T2_PKT1_PKS4_PKS3_SB_21rocsparse_index_base_22rocsparse_matrix_type_20rocsparse_fill_mode_23rocsparse_storage_mode_P22rocsparse_data_status_.numbered_sgpr, 46
	.set _ZN9rocsparseL23check_matrix_csr_deviceILj256ELj64E21rocsparse_complex_numIfEllEEvT3_S3_T2_PKT1_PKS4_PKS3_SB_21rocsparse_index_base_22rocsparse_matrix_type_20rocsparse_fill_mode_23rocsparse_storage_mode_P22rocsparse_data_status_.num_named_barrier, 0
	.set _ZN9rocsparseL23check_matrix_csr_deviceILj256ELj64E21rocsparse_complex_numIfEllEEvT3_S3_T2_PKT1_PKS4_PKS3_SB_21rocsparse_index_base_22rocsparse_matrix_type_20rocsparse_fill_mode_23rocsparse_storage_mode_P22rocsparse_data_status_.private_seg_size, 0
	.set _ZN9rocsparseL23check_matrix_csr_deviceILj256ELj64E21rocsparse_complex_numIfEllEEvT3_S3_T2_PKT1_PKS4_PKS3_SB_21rocsparse_index_base_22rocsparse_matrix_type_20rocsparse_fill_mode_23rocsparse_storage_mode_P22rocsparse_data_status_.uses_vcc, 1
	.set _ZN9rocsparseL23check_matrix_csr_deviceILj256ELj64E21rocsparse_complex_numIfEllEEvT3_S3_T2_PKT1_PKS4_PKS3_SB_21rocsparse_index_base_22rocsparse_matrix_type_20rocsparse_fill_mode_23rocsparse_storage_mode_P22rocsparse_data_status_.uses_flat_scratch, 0
	.set _ZN9rocsparseL23check_matrix_csr_deviceILj256ELj64E21rocsparse_complex_numIfEllEEvT3_S3_T2_PKT1_PKS4_PKS3_SB_21rocsparse_index_base_22rocsparse_matrix_type_20rocsparse_fill_mode_23rocsparse_storage_mode_P22rocsparse_data_status_.has_dyn_sized_stack, 0
	.set _ZN9rocsparseL23check_matrix_csr_deviceILj256ELj64E21rocsparse_complex_numIfEllEEvT3_S3_T2_PKT1_PKS4_PKS3_SB_21rocsparse_index_base_22rocsparse_matrix_type_20rocsparse_fill_mode_23rocsparse_storage_mode_P22rocsparse_data_status_.has_recursion, 0
	.set _ZN9rocsparseL23check_matrix_csr_deviceILj256ELj64E21rocsparse_complex_numIfEllEEvT3_S3_T2_PKT1_PKS4_PKS3_SB_21rocsparse_index_base_22rocsparse_matrix_type_20rocsparse_fill_mode_23rocsparse_storage_mode_P22rocsparse_data_status_.has_indirect_call, 0
	.section	.AMDGPU.csdata,"",@progbits
; Kernel info:
; codeLenInByte = 952
; TotalNumSgprs: 50
; NumVgprs: 25
; ScratchSize: 0
; MemoryBound: 0
; FloatMode: 240
; IeeeMode: 1
; LDSByteSize: 0 bytes/workgroup (compile time only)
; SGPRBlocks: 6
; VGPRBlocks: 6
; NumSGPRsForWavesPerEU: 50
; NumVGPRsForWavesPerEU: 25
; Occupancy: 9
; WaveLimiterHint : 0
; COMPUTE_PGM_RSRC2:SCRATCH_EN: 0
; COMPUTE_PGM_RSRC2:USER_SGPR: 6
; COMPUTE_PGM_RSRC2:TRAP_HANDLER: 0
; COMPUTE_PGM_RSRC2:TGID_X_EN: 1
; COMPUTE_PGM_RSRC2:TGID_Y_EN: 0
; COMPUTE_PGM_RSRC2:TGID_Z_EN: 0
; COMPUTE_PGM_RSRC2:TIDIG_COMP_CNT: 0
	.section	.text._ZN9rocsparseL23check_matrix_csr_deviceILj256ELj128E21rocsparse_complex_numIfEllEEvT3_S3_T2_PKT1_PKS4_PKS3_SB_21rocsparse_index_base_22rocsparse_matrix_type_20rocsparse_fill_mode_23rocsparse_storage_mode_P22rocsparse_data_status_,"axG",@progbits,_ZN9rocsparseL23check_matrix_csr_deviceILj256ELj128E21rocsparse_complex_numIfEllEEvT3_S3_T2_PKT1_PKS4_PKS3_SB_21rocsparse_index_base_22rocsparse_matrix_type_20rocsparse_fill_mode_23rocsparse_storage_mode_P22rocsparse_data_status_,comdat
	.globl	_ZN9rocsparseL23check_matrix_csr_deviceILj256ELj128E21rocsparse_complex_numIfEllEEvT3_S3_T2_PKT1_PKS4_PKS3_SB_21rocsparse_index_base_22rocsparse_matrix_type_20rocsparse_fill_mode_23rocsparse_storage_mode_P22rocsparse_data_status_ ; -- Begin function _ZN9rocsparseL23check_matrix_csr_deviceILj256ELj128E21rocsparse_complex_numIfEllEEvT3_S3_T2_PKT1_PKS4_PKS3_SB_21rocsparse_index_base_22rocsparse_matrix_type_20rocsparse_fill_mode_23rocsparse_storage_mode_P22rocsparse_data_status_
	.p2align	8
	.type	_ZN9rocsparseL23check_matrix_csr_deviceILj256ELj128E21rocsparse_complex_numIfEllEEvT3_S3_T2_PKT1_PKS4_PKS3_SB_21rocsparse_index_base_22rocsparse_matrix_type_20rocsparse_fill_mode_23rocsparse_storage_mode_P22rocsparse_data_status_,@function
_ZN9rocsparseL23check_matrix_csr_deviceILj256ELj128E21rocsparse_complex_numIfEllEEvT3_S3_T2_PKT1_PKS4_PKS3_SB_21rocsparse_index_base_22rocsparse_matrix_type_20rocsparse_fill_mode_23rocsparse_storage_mode_P22rocsparse_data_status_: ; @_ZN9rocsparseL23check_matrix_csr_deviceILj256ELj128E21rocsparse_complex_numIfEllEEvT3_S3_T2_PKT1_PKS4_PKS3_SB_21rocsparse_index_base_22rocsparse_matrix_type_20rocsparse_fill_mode_23rocsparse_storage_mode_P22rocsparse_data_status_
; %bb.0:
	s_load_dwordx4 s[16:19], s[4:5], 0x0
	v_lshl_or_b32 v1, s6, 8, v0
	v_lshrrev_b32_e32 v1, 7, v1
	v_mov_b32_e32 v2, 0
	s_waitcnt lgkmcnt(0)
	v_cmp_gt_i64_e32 vcc, s[16:17], v[1:2]
	s_and_saveexec_b64 s[0:1], vcc
	s_cbranch_execz .LBB81_31
; %bb.1:
	s_load_dwordx2 s[0:1], s[4:5], 0x20
	v_lshlrev_b32_e32 v3, 3, v1
	v_mov_b32_e32 v21, 3
	s_mov_b64 s[10:11], -1
	s_mov_b64 s[8:9], 0
	s_waitcnt lgkmcnt(0)
	global_load_dwordx4 v[7:10], v3, s[0:1]
	s_load_dwordx2 s[0:1], s[0:1], 0x0
	s_waitcnt lgkmcnt(0)
	v_mov_b32_e32 v6, s1
	s_waitcnt vmcnt(0)
	v_subrev_co_u32_e32 v3, vcc, s0, v7
	v_subb_co_u32_e32 v4, vcc, v8, v6, vcc
	v_subrev_co_u32_e32 v5, vcc, s0, v9
	v_subb_co_u32_e32 v6, vcc, v10, v6, vcc
	v_cmp_gt_i64_e64 s[0:1], 0, v[5:6]
	v_cmp_lt_i64_e64 s[2:3], v[9:10], v[7:8]
	v_cmp_lt_i64_e32 vcc, -1, v[3:4]
	s_or_b64 s[0:1], s[0:1], s[2:3]
	s_xor_b64 s[0:1], s[0:1], -1
	s_and_b64 s[0:1], vcc, s[0:1]
	s_and_saveexec_b64 s[6:7], s[0:1]
	s_cbranch_execz .LBB81_29
; %bb.2:
	v_and_b32_e32 v0, 0x7f, v0
	v_add_co_u32_e32 v7, vcc, v3, v0
	v_addc_co_u32_e32 v8, vcc, 0, v4, vcc
	v_cmp_lt_u64_e32 vcc, v[7:8], v[5:6]
	v_mov_b32_e32 v21, 3
	s_and_saveexec_b64 s[16:17], vcc
	s_cbranch_execz .LBB81_28
; %bb.3:
	s_load_dwordx8 s[8:15], s[4:5], 0x28
	s_load_dwordx2 s[0:1], s[4:5], 0x18
	v_lshlrev_b64 v[13:14], 3, v[7:8]
                                        ; implicit-def: $sgpr24_sgpr25
                                        ; implicit-def: $sgpr26_sgpr27
	v_add_co_u32_e32 v0, vcc, -8, v13
	v_addc_co_u32_e32 v12, vcc, -1, v14, vcc
	s_waitcnt lgkmcnt(0)
	v_mov_b32_e32 v10, s11
	v_add_co_u32_e32 v9, vcc, s10, v0
	v_addc_co_u32_e32 v10, vcc, v10, v12, vcc
	v_mov_b32_e32 v15, s9
	v_add_co_u32_e32 v11, vcc, s8, v0
	v_addc_co_u32_e32 v12, vcc, v15, v12, vcc
	s_cmp_lg_u32 s13, 0
	v_mov_b32_e32 v0, s1
	v_add_co_u32_e32 v13, vcc, s0, v13
	s_cselect_b64 s[20:21], -1, 0
	s_cmp_lg_u32 s14, 0
	v_addc_co_u32_e32 v0, vcc, v0, v14, vcc
	s_cselect_b64 s[22:23], -1, 0
	s_cmp_lg_u32 s15, 0
	v_add_co_u32_e32 v13, vcc, 4, v13
	s_cselect_b64 s[14:15], -1, 0
	v_addc_co_u32_e32 v14, vcc, 0, v0, vcc
	s_mov_b64 s[8:9], 0
	s_mov_b32 s13, 0x7f800000
                                        ; implicit-def: $sgpr10_sgpr11
	s_branch .LBB81_10
.LBB81_4:                               ;   in Loop: Header=BB81_10 Depth=1
	s_or_b64 exec, exec, s[0:1]
	s_orn2_b64 s[42:43], s[2:3], exec
	s_orn2_b64 s[0:1], s[38:39], exec
.LBB81_5:                               ;   in Loop: Header=BB81_10 Depth=1
	s_or_b64 exec, exec, s[40:41]
	s_orn2_b64 s[2:3], s[42:43], exec
	s_orn2_b64 s[0:1], s[0:1], exec
.LBB81_6:                               ;   in Loop: Header=BB81_10 Depth=1
	s_or_b64 exec, exec, s[36:37]
	s_orn2_b64 s[36:37], s[2:3], exec
	s_orn2_b64 s[2:3], s[0:1], exec
.LBB81_7:                               ;   in Loop: Header=BB81_10 Depth=1
	s_or_b64 exec, exec, s[34:35]
	s_orn2_b64 s[34:35], s[36:37], exec
	s_orn2_b64 s[0:1], s[2:3], exec
.LBB81_8:                               ;   in Loop: Header=BB81_10 Depth=1
	s_or_b64 exec, exec, s[30:31]
	s_andn2_b64 s[2:3], s[26:27], exec
	s_and_b64 s[26:27], s[34:35], exec
	s_or_b64 s[26:27], s[2:3], s[26:27]
	s_andn2_b64 s[2:3], s[24:25], exec
	s_and_b64 s[0:1], s[0:1], exec
	s_or_b64 s[24:25], s[2:3], s[0:1]
.LBB81_9:                               ;   in Loop: Header=BB81_10 Depth=1
	s_or_b64 exec, exec, s[28:29]
	s_and_b64 s[0:1], exec, s[24:25]
	s_or_b64 s[8:9], s[0:1], s[8:9]
	s_andn2_b64 s[0:1], s[10:11], exec
	s_and_b64 s[2:3], s[26:27], exec
	s_or_b64 s[10:11], s[0:1], s[2:3]
	s_andn2_b64 exec, exec, s[8:9]
	s_cbranch_execz .LBB81_27
.LBB81_10:                              ; =>This Inner Loop Header: Depth=1
	global_load_dwordx2 v[15:16], v[11:12], off offset:8
	v_mov_b32_e32 v21, 4
	s_or_b64 s[26:27], s[26:27], exec
	s_or_b64 s[24:25], s[24:25], exec
	s_waitcnt vmcnt(0)
	v_subrev_co_u32_e32 v17, vcc, s12, v15
	v_subbrev_co_u32_e32 v18, vcc, 0, v16, vcc
	v_cmp_lt_i64_e32 vcc, -1, v[17:18]
	v_cmp_gt_i64_e64 s[0:1], s[18:19], v[17:18]
	s_and_b64 s[0:1], vcc, s[0:1]
	s_and_saveexec_b64 s[28:29], s[0:1]
	s_cbranch_execz .LBB81_9
; %bb.11:                               ;   in Loop: Header=BB81_10 Depth=1
	v_cmp_le_i64_e64 s[38:39], v[7:8], v[3:4]
	v_cmp_gt_i64_e32 vcc, v[7:8], v[3:4]
	v_mov_b32_e32 v21, 4
	s_mov_b64 s[2:3], s[38:39]
	s_and_saveexec_b64 s[30:31], vcc
	s_cbranch_execz .LBB81_13
; %bb.12:                               ;   in Loop: Header=BB81_10 Depth=1
	global_load_dwordx4 v[19:22], v[9:10], off
	s_waitcnt vmcnt(0)
	v_subrev_co_u32_e32 v23, vcc, s12, v19
	v_subbrev_co_u32_e32 v24, vcc, 0, v20, vcc
	v_cmp_lt_i64_e64 s[0:1], -1, v[23:24]
	v_cmp_gt_i64_e64 s[2:3], s[18:19], v[23:24]
	v_cmp_ne_u64_e32 vcc, v[21:22], v[19:20]
	s_and_b64 s[0:1], s[0:1], s[2:3]
	s_xor_b64 s[0:1], s[0:1], -1
	s_or_b64 s[0:1], vcc, s[0:1]
	s_andn2_b64 s[2:3], s[38:39], exec
	s_and_b64 s[0:1], s[0:1], exec
	v_mov_b32_e32 v21, 5
	s_or_b64 s[2:3], s[2:3], s[0:1]
.LBB81_13:                              ;   in Loop: Header=BB81_10 Depth=1
	s_or_b64 exec, exec, s[30:31]
	s_mov_b64 s[0:1], -1
	s_mov_b64 s[34:35], -1
	s_and_saveexec_b64 s[30:31], s[2:3]
	s_cbranch_execz .LBB81_8
; %bb.14:                               ;   in Loop: Header=BB81_10 Depth=1
	global_load_dwordx2 v[19:20], v[13:14], off offset:-4
	v_mov_b32_e32 v21, 1
	s_mov_b64 s[2:3], -1
	s_mov_b64 s[36:37], -1
	s_waitcnt vmcnt(0)
	v_cmp_neq_f32_e32 vcc, s13, v19
	v_cmp_neq_f32_e64 s[0:1], s13, v20
	s_and_b64 s[0:1], vcc, s[0:1]
	s_and_saveexec_b64 s[34:35], s[0:1]
	s_cbranch_execz .LBB81_7
; %bb.15:                               ;   in Loop: Header=BB81_10 Depth=1
	v_cmp_o_f32_e32 vcc, v19, v20
	v_mov_b32_e32 v21, 2
	s_mov_b64 s[0:1], -1
	s_and_saveexec_b64 s[36:37], vcc
	s_cbranch_execz .LBB81_6
; %bb.16:                               ;   in Loop: Header=BB81_10 Depth=1
	s_and_b64 vcc, exec, s[20:21]
	s_cbranch_vccz .LBB81_19
; %bb.17:                               ;   in Loop: Header=BB81_10 Depth=1
	s_and_b64 vcc, exec, s[22:23]
	s_cbranch_vccz .LBB81_20
; %bb.18:                               ;   in Loop: Header=BB81_10 Depth=1
	v_cmp_ge_i64_e32 vcc, v[17:18], v[1:2]
	s_mov_b32 s33, 7
	s_and_b64 s[2:3], vcc, exec
	s_cbranch_execz .LBB81_21
	s_branch .LBB81_22
.LBB81_19:                              ;   in Loop: Header=BB81_10 Depth=1
	s_mov_b32 s33, 2
	s_branch .LBB81_22
.LBB81_20:                              ;   in Loop: Header=BB81_10 Depth=1
	s_mov_b64 s[2:3], 0
	s_mov_b32 s33, 2
.LBB81_21:                              ;   in Loop: Header=BB81_10 Depth=1
	v_cmp_le_i64_e32 vcc, v[17:18], v[1:2]
	s_andn2_b64 s[2:3], s[2:3], exec
	s_and_b64 s[40:41], vcc, exec
	s_mov_b32 s33, 7
	s_or_b64 s[2:3], s[2:3], s[40:41]
.LBB81_22:                              ;   in Loop: Header=BB81_10 Depth=1
	v_mov_b32_e32 v21, s33
	s_mov_b64 s[42:43], -1
	s_and_saveexec_b64 s[40:41], s[2:3]
	s_cbranch_execz .LBB81_5
; %bb.23:                               ;   in Loop: Header=BB81_10 Depth=1
	s_nor_b64 s[0:1], s[14:15], s[38:39]
	s_mov_b64 s[38:39], -1
	v_mov_b32_e32 v21, s33
	s_mov_b64 s[44:45], -1
	s_and_saveexec_b64 s[42:43], s[0:1]
	s_cbranch_execz .LBB81_25
; %bb.24:                               ;   in Loop: Header=BB81_10 Depth=1
	global_load_dwordx2 v[17:18], v[11:12], off
	v_mov_b32_e32 v21, 6
	s_waitcnt vmcnt(0)
	v_subrev_co_u32_e32 v19, vcc, s12, v17
	v_subbrev_co_u32_e32 v20, vcc, 0, v18, vcc
	v_cmp_lt_i64_e32 vcc, -1, v[19:20]
	v_cmp_gt_i64_e64 s[0:1], s[18:19], v[19:20]
	v_cmp_gt_i64_e64 s[2:3], v[15:16], v[17:18]
	s_and_b64 s[0:1], vcc, s[0:1]
	s_xor_b64 s[0:1], s[0:1], -1
	s_or_b64 s[0:1], s[2:3], s[0:1]
	s_orn2_b64 s[44:45], s[0:1], exec
.LBB81_25:                              ;   in Loop: Header=BB81_10 Depth=1
	s_or_b64 exec, exec, s[42:43]
	s_mov_b64 s[2:3], -1
	s_and_saveexec_b64 s[0:1], s[44:45]
	s_cbranch_execz .LBB81_4
; %bb.26:                               ;   in Loop: Header=BB81_10 Depth=1
	v_add_co_u32_e32 v7, vcc, 0x80, v7
	v_addc_co_u32_e32 v8, vcc, 0, v8, vcc
	v_add_co_u32_e32 v9, vcc, 0x400, v9
	v_addc_co_u32_e32 v10, vcc, 0, v10, vcc
	;; [unrolled: 2-line block ×4, first 2 shown]
	v_cmp_ge_i64_e32 vcc, v[7:8], v[5:6]
	s_xor_b64 s[2:3], exec, -1
	s_orn2_b64 s[38:39], vcc, exec
	s_branch .LBB81_4
.LBB81_27:
	s_or_b64 exec, exec, s[8:9]
	s_and_b64 s[8:9], s[10:11], exec
.LBB81_28:
	s_or_b64 exec, exec, s[16:17]
	s_orn2_b64 s[10:11], s[8:9], exec
.LBB81_29:
	s_or_b64 exec, exec, s[6:7]
	s_and_b64 exec, exec, s[10:11]
	s_cbranch_execz .LBB81_31
; %bb.30:
	s_load_dwordx2 s[0:1], s[4:5], 0x48
	v_mov_b32_e32 v0, 0
	s_waitcnt lgkmcnt(0)
	global_store_dword v0, v21, s[0:1]
.LBB81_31:
	s_endpgm
	.section	.rodata,"a",@progbits
	.p2align	6, 0x0
	.amdhsa_kernel _ZN9rocsparseL23check_matrix_csr_deviceILj256ELj128E21rocsparse_complex_numIfEllEEvT3_S3_T2_PKT1_PKS4_PKS3_SB_21rocsparse_index_base_22rocsparse_matrix_type_20rocsparse_fill_mode_23rocsparse_storage_mode_P22rocsparse_data_status_
		.amdhsa_group_segment_fixed_size 0
		.amdhsa_private_segment_fixed_size 0
		.amdhsa_kernarg_size 80
		.amdhsa_user_sgpr_count 6
		.amdhsa_user_sgpr_private_segment_buffer 1
		.amdhsa_user_sgpr_dispatch_ptr 0
		.amdhsa_user_sgpr_queue_ptr 0
		.amdhsa_user_sgpr_kernarg_segment_ptr 1
		.amdhsa_user_sgpr_dispatch_id 0
		.amdhsa_user_sgpr_flat_scratch_init 0
		.amdhsa_user_sgpr_private_segment_size 0
		.amdhsa_uses_dynamic_stack 0
		.amdhsa_system_sgpr_private_segment_wavefront_offset 0
		.amdhsa_system_sgpr_workgroup_id_x 1
		.amdhsa_system_sgpr_workgroup_id_y 0
		.amdhsa_system_sgpr_workgroup_id_z 0
		.amdhsa_system_sgpr_workgroup_info 0
		.amdhsa_system_vgpr_workitem_id 0
		.amdhsa_next_free_vgpr 25
		.amdhsa_next_free_sgpr 46
		.amdhsa_reserve_vcc 1
		.amdhsa_reserve_flat_scratch 0
		.amdhsa_float_round_mode_32 0
		.amdhsa_float_round_mode_16_64 0
		.amdhsa_float_denorm_mode_32 3
		.amdhsa_float_denorm_mode_16_64 3
		.amdhsa_dx10_clamp 1
		.amdhsa_ieee_mode 1
		.amdhsa_fp16_overflow 0
		.amdhsa_exception_fp_ieee_invalid_op 0
		.amdhsa_exception_fp_denorm_src 0
		.amdhsa_exception_fp_ieee_div_zero 0
		.amdhsa_exception_fp_ieee_overflow 0
		.amdhsa_exception_fp_ieee_underflow 0
		.amdhsa_exception_fp_ieee_inexact 0
		.amdhsa_exception_int_div_zero 0
	.end_amdhsa_kernel
	.section	.text._ZN9rocsparseL23check_matrix_csr_deviceILj256ELj128E21rocsparse_complex_numIfEllEEvT3_S3_T2_PKT1_PKS4_PKS3_SB_21rocsparse_index_base_22rocsparse_matrix_type_20rocsparse_fill_mode_23rocsparse_storage_mode_P22rocsparse_data_status_,"axG",@progbits,_ZN9rocsparseL23check_matrix_csr_deviceILj256ELj128E21rocsparse_complex_numIfEllEEvT3_S3_T2_PKT1_PKS4_PKS3_SB_21rocsparse_index_base_22rocsparse_matrix_type_20rocsparse_fill_mode_23rocsparse_storage_mode_P22rocsparse_data_status_,comdat
.Lfunc_end81:
	.size	_ZN9rocsparseL23check_matrix_csr_deviceILj256ELj128E21rocsparse_complex_numIfEllEEvT3_S3_T2_PKT1_PKS4_PKS3_SB_21rocsparse_index_base_22rocsparse_matrix_type_20rocsparse_fill_mode_23rocsparse_storage_mode_P22rocsparse_data_status_, .Lfunc_end81-_ZN9rocsparseL23check_matrix_csr_deviceILj256ELj128E21rocsparse_complex_numIfEllEEvT3_S3_T2_PKT1_PKS4_PKS3_SB_21rocsparse_index_base_22rocsparse_matrix_type_20rocsparse_fill_mode_23rocsparse_storage_mode_P22rocsparse_data_status_
                                        ; -- End function
	.set _ZN9rocsparseL23check_matrix_csr_deviceILj256ELj128E21rocsparse_complex_numIfEllEEvT3_S3_T2_PKT1_PKS4_PKS3_SB_21rocsparse_index_base_22rocsparse_matrix_type_20rocsparse_fill_mode_23rocsparse_storage_mode_P22rocsparse_data_status_.num_vgpr, 25
	.set _ZN9rocsparseL23check_matrix_csr_deviceILj256ELj128E21rocsparse_complex_numIfEllEEvT3_S3_T2_PKT1_PKS4_PKS3_SB_21rocsparse_index_base_22rocsparse_matrix_type_20rocsparse_fill_mode_23rocsparse_storage_mode_P22rocsparse_data_status_.num_agpr, 0
	.set _ZN9rocsparseL23check_matrix_csr_deviceILj256ELj128E21rocsparse_complex_numIfEllEEvT3_S3_T2_PKT1_PKS4_PKS3_SB_21rocsparse_index_base_22rocsparse_matrix_type_20rocsparse_fill_mode_23rocsparse_storage_mode_P22rocsparse_data_status_.numbered_sgpr, 46
	.set _ZN9rocsparseL23check_matrix_csr_deviceILj256ELj128E21rocsparse_complex_numIfEllEEvT3_S3_T2_PKT1_PKS4_PKS3_SB_21rocsparse_index_base_22rocsparse_matrix_type_20rocsparse_fill_mode_23rocsparse_storage_mode_P22rocsparse_data_status_.num_named_barrier, 0
	.set _ZN9rocsparseL23check_matrix_csr_deviceILj256ELj128E21rocsparse_complex_numIfEllEEvT3_S3_T2_PKT1_PKS4_PKS3_SB_21rocsparse_index_base_22rocsparse_matrix_type_20rocsparse_fill_mode_23rocsparse_storage_mode_P22rocsparse_data_status_.private_seg_size, 0
	.set _ZN9rocsparseL23check_matrix_csr_deviceILj256ELj128E21rocsparse_complex_numIfEllEEvT3_S3_T2_PKT1_PKS4_PKS3_SB_21rocsparse_index_base_22rocsparse_matrix_type_20rocsparse_fill_mode_23rocsparse_storage_mode_P22rocsparse_data_status_.uses_vcc, 1
	.set _ZN9rocsparseL23check_matrix_csr_deviceILj256ELj128E21rocsparse_complex_numIfEllEEvT3_S3_T2_PKT1_PKS4_PKS3_SB_21rocsparse_index_base_22rocsparse_matrix_type_20rocsparse_fill_mode_23rocsparse_storage_mode_P22rocsparse_data_status_.uses_flat_scratch, 0
	.set _ZN9rocsparseL23check_matrix_csr_deviceILj256ELj128E21rocsparse_complex_numIfEllEEvT3_S3_T2_PKT1_PKS4_PKS3_SB_21rocsparse_index_base_22rocsparse_matrix_type_20rocsparse_fill_mode_23rocsparse_storage_mode_P22rocsparse_data_status_.has_dyn_sized_stack, 0
	.set _ZN9rocsparseL23check_matrix_csr_deviceILj256ELj128E21rocsparse_complex_numIfEllEEvT3_S3_T2_PKT1_PKS4_PKS3_SB_21rocsparse_index_base_22rocsparse_matrix_type_20rocsparse_fill_mode_23rocsparse_storage_mode_P22rocsparse_data_status_.has_recursion, 0
	.set _ZN9rocsparseL23check_matrix_csr_deviceILj256ELj128E21rocsparse_complex_numIfEllEEvT3_S3_T2_PKT1_PKS4_PKS3_SB_21rocsparse_index_base_22rocsparse_matrix_type_20rocsparse_fill_mode_23rocsparse_storage_mode_P22rocsparse_data_status_.has_indirect_call, 0
	.section	.AMDGPU.csdata,"",@progbits
; Kernel info:
; codeLenInByte = 960
; TotalNumSgprs: 50
; NumVgprs: 25
; ScratchSize: 0
; MemoryBound: 0
; FloatMode: 240
; IeeeMode: 1
; LDSByteSize: 0 bytes/workgroup (compile time only)
; SGPRBlocks: 6
; VGPRBlocks: 6
; NumSGPRsForWavesPerEU: 50
; NumVGPRsForWavesPerEU: 25
; Occupancy: 9
; WaveLimiterHint : 0
; COMPUTE_PGM_RSRC2:SCRATCH_EN: 0
; COMPUTE_PGM_RSRC2:USER_SGPR: 6
; COMPUTE_PGM_RSRC2:TRAP_HANDLER: 0
; COMPUTE_PGM_RSRC2:TGID_X_EN: 1
; COMPUTE_PGM_RSRC2:TGID_Y_EN: 0
; COMPUTE_PGM_RSRC2:TGID_Z_EN: 0
; COMPUTE_PGM_RSRC2:TIDIG_COMP_CNT: 0
	.section	.text._ZN9rocsparseL23check_matrix_csr_deviceILj256ELj256E21rocsparse_complex_numIfEllEEvT3_S3_T2_PKT1_PKS4_PKS3_SB_21rocsparse_index_base_22rocsparse_matrix_type_20rocsparse_fill_mode_23rocsparse_storage_mode_P22rocsparse_data_status_,"axG",@progbits,_ZN9rocsparseL23check_matrix_csr_deviceILj256ELj256E21rocsparse_complex_numIfEllEEvT3_S3_T2_PKT1_PKS4_PKS3_SB_21rocsparse_index_base_22rocsparse_matrix_type_20rocsparse_fill_mode_23rocsparse_storage_mode_P22rocsparse_data_status_,comdat
	.globl	_ZN9rocsparseL23check_matrix_csr_deviceILj256ELj256E21rocsparse_complex_numIfEllEEvT3_S3_T2_PKT1_PKS4_PKS3_SB_21rocsparse_index_base_22rocsparse_matrix_type_20rocsparse_fill_mode_23rocsparse_storage_mode_P22rocsparse_data_status_ ; -- Begin function _ZN9rocsparseL23check_matrix_csr_deviceILj256ELj256E21rocsparse_complex_numIfEllEEvT3_S3_T2_PKT1_PKS4_PKS3_SB_21rocsparse_index_base_22rocsparse_matrix_type_20rocsparse_fill_mode_23rocsparse_storage_mode_P22rocsparse_data_status_
	.p2align	8
	.type	_ZN9rocsparseL23check_matrix_csr_deviceILj256ELj256E21rocsparse_complex_numIfEllEEvT3_S3_T2_PKT1_PKS4_PKS3_SB_21rocsparse_index_base_22rocsparse_matrix_type_20rocsparse_fill_mode_23rocsparse_storage_mode_P22rocsparse_data_status_,@function
_ZN9rocsparseL23check_matrix_csr_deviceILj256ELj256E21rocsparse_complex_numIfEllEEvT3_S3_T2_PKT1_PKS4_PKS3_SB_21rocsparse_index_base_22rocsparse_matrix_type_20rocsparse_fill_mode_23rocsparse_storage_mode_P22rocsparse_data_status_: ; @_ZN9rocsparseL23check_matrix_csr_deviceILj256ELj256E21rocsparse_complex_numIfEllEEvT3_S3_T2_PKT1_PKS4_PKS3_SB_21rocsparse_index_base_22rocsparse_matrix_type_20rocsparse_fill_mode_23rocsparse_storage_mode_P22rocsparse_data_status_
; %bb.0:
	s_load_dwordx4 s[16:19], s[4:5], 0x0
	s_and_b32 s6, s6, 0xffffff
	s_mov_b32 s7, 0
	v_mov_b32_e32 v1, s6
	v_mov_b32_e32 v2, s7
	s_waitcnt lgkmcnt(0)
	v_cmp_gt_i64_e32 vcc, s[16:17], v[1:2]
	s_and_saveexec_b64 s[0:1], vcc
	s_cbranch_execz .LBB82_31
; %bb.1:
	s_load_dwordx2 s[0:1], s[4:5], 0x20
	v_mov_b32_e32 v1, s6
	v_lshlrev_b32_e32 v1, 3, v1
	v_mov_b32_e32 v2, s7
	v_mov_b32_e32 v19, 3
	s_waitcnt lgkmcnt(0)
	global_load_dwordx4 v[5:8], v1, s[0:1]
	s_load_dwordx2 s[0:1], s[0:1], 0x0
	s_mov_b64 s[10:11], -1
	s_mov_b64 s[8:9], 0
	s_waitcnt lgkmcnt(0)
	v_mov_b32_e32 v4, s1
	s_waitcnt vmcnt(0)
	v_subrev_co_u32_e32 v1, vcc, s0, v5
	v_subb_co_u32_e32 v2, vcc, v6, v4, vcc
	v_subrev_co_u32_e32 v3, vcc, s0, v7
	v_subb_co_u32_e32 v4, vcc, v8, v4, vcc
	v_cmp_gt_i64_e64 s[0:1], 0, v[3:4]
	v_cmp_lt_i64_e64 s[2:3], v[7:8], v[5:6]
	v_cmp_lt_i64_e32 vcc, -1, v[1:2]
	s_or_b64 s[0:1], s[0:1], s[2:3]
	s_xor_b64 s[0:1], s[0:1], -1
	s_and_b64 s[0:1], vcc, s[0:1]
	s_and_saveexec_b64 s[16:17], s[0:1]
	s_cbranch_execz .LBB82_29
; %bb.2:
	v_add_co_u32_e32 v5, vcc, v1, v0
	v_addc_co_u32_e32 v6, vcc, 0, v2, vcc
	v_cmp_lt_u64_e32 vcc, v[5:6], v[3:4]
	v_mov_b32_e32 v19, 3
	s_and_saveexec_b64 s[20:21], vcc
	s_cbranch_execz .LBB82_28
; %bb.3:
	s_load_dwordx8 s[8:15], s[4:5], 0x28
	s_load_dwordx2 s[0:1], s[4:5], 0x18
	v_lshlrev_b64 v[11:12], 3, v[5:6]
                                        ; implicit-def: $sgpr26_sgpr27
                                        ; implicit-def: $sgpr28_sgpr29
	v_add_co_u32_e32 v0, vcc, -8, v11
	v_addc_co_u32_e32 v10, vcc, -1, v12, vcc
	s_waitcnt lgkmcnt(0)
	v_mov_b32_e32 v8, s11
	v_add_co_u32_e32 v7, vcc, s10, v0
	v_addc_co_u32_e32 v8, vcc, v8, v10, vcc
	v_mov_b32_e32 v13, s9
	v_add_co_u32_e32 v9, vcc, s8, v0
	v_addc_co_u32_e32 v10, vcc, v13, v10, vcc
	s_cmp_lg_u32 s13, 0
	v_mov_b32_e32 v0, s1
	v_add_co_u32_e32 v11, vcc, s0, v11
	s_cselect_b64 s[22:23], -1, 0
	s_cmp_lg_u32 s14, 0
	v_addc_co_u32_e32 v0, vcc, v0, v12, vcc
	s_cselect_b64 s[24:25], -1, 0
	s_cmp_lg_u32 s15, 0
	v_add_co_u32_e32 v11, vcc, 4, v11
	s_cselect_b64 s[14:15], -1, 0
	v_addc_co_u32_e32 v12, vcc, 0, v0, vcc
	s_mov_b64 s[8:9], 0
	s_mov_b32 s13, 0x7f800000
                                        ; implicit-def: $sgpr10_sgpr11
	s_branch .LBB82_10
.LBB82_4:                               ;   in Loop: Header=BB82_10 Depth=1
	s_or_b64 exec, exec, s[0:1]
	s_orn2_b64 s[44:45], s[2:3], exec
	s_orn2_b64 s[0:1], s[40:41], exec
.LBB82_5:                               ;   in Loop: Header=BB82_10 Depth=1
	s_or_b64 exec, exec, s[42:43]
	s_orn2_b64 s[2:3], s[44:45], exec
	s_orn2_b64 s[0:1], s[0:1], exec
.LBB82_6:                               ;   in Loop: Header=BB82_10 Depth=1
	s_or_b64 exec, exec, s[38:39]
	s_orn2_b64 s[38:39], s[2:3], exec
	s_orn2_b64 s[2:3], s[0:1], exec
.LBB82_7:                               ;   in Loop: Header=BB82_10 Depth=1
	s_or_b64 exec, exec, s[36:37]
	s_orn2_b64 s[36:37], s[38:39], exec
	s_orn2_b64 s[0:1], s[2:3], exec
.LBB82_8:                               ;   in Loop: Header=BB82_10 Depth=1
	s_or_b64 exec, exec, s[34:35]
	s_andn2_b64 s[2:3], s[28:29], exec
	s_and_b64 s[28:29], s[36:37], exec
	s_or_b64 s[28:29], s[2:3], s[28:29]
	s_andn2_b64 s[2:3], s[26:27], exec
	s_and_b64 s[0:1], s[0:1], exec
	s_or_b64 s[26:27], s[2:3], s[0:1]
.LBB82_9:                               ;   in Loop: Header=BB82_10 Depth=1
	s_or_b64 exec, exec, s[30:31]
	s_and_b64 s[0:1], exec, s[26:27]
	s_or_b64 s[8:9], s[0:1], s[8:9]
	s_andn2_b64 s[0:1], s[10:11], exec
	s_and_b64 s[2:3], s[28:29], exec
	s_or_b64 s[10:11], s[0:1], s[2:3]
	s_andn2_b64 exec, exec, s[8:9]
	s_cbranch_execz .LBB82_27
.LBB82_10:                              ; =>This Inner Loop Header: Depth=1
	global_load_dwordx2 v[13:14], v[9:10], off offset:8
	v_mov_b32_e32 v19, 4
	s_or_b64 s[28:29], s[28:29], exec
	s_or_b64 s[26:27], s[26:27], exec
	s_waitcnt vmcnt(0)
	v_subrev_co_u32_e32 v15, vcc, s12, v13
	v_subbrev_co_u32_e32 v16, vcc, 0, v14, vcc
	v_cmp_lt_i64_e32 vcc, -1, v[15:16]
	v_cmp_gt_i64_e64 s[0:1], s[18:19], v[15:16]
	s_and_b64 s[0:1], vcc, s[0:1]
	s_and_saveexec_b64 s[30:31], s[0:1]
	s_cbranch_execz .LBB82_9
; %bb.11:                               ;   in Loop: Header=BB82_10 Depth=1
	v_cmp_le_i64_e64 s[40:41], v[5:6], v[1:2]
	v_cmp_gt_i64_e32 vcc, v[5:6], v[1:2]
	v_mov_b32_e32 v19, 4
	s_mov_b64 s[2:3], s[40:41]
	s_and_saveexec_b64 s[34:35], vcc
	s_cbranch_execz .LBB82_13
; %bb.12:                               ;   in Loop: Header=BB82_10 Depth=1
	global_load_dwordx4 v[20:23], v[7:8], off
	v_mov_b32_e32 v19, 5
	s_waitcnt vmcnt(0)
	v_subrev_co_u32_e32 v17, vcc, s12, v20
	v_subbrev_co_u32_e32 v18, vcc, 0, v21, vcc
	v_cmp_lt_i64_e32 vcc, -1, v[17:18]
	v_cmp_gt_i64_e64 s[0:1], s[18:19], v[17:18]
	v_cmp_ne_u64_e64 s[2:3], v[22:23], v[20:21]
	s_and_b64 s[0:1], vcc, s[0:1]
	s_xor_b64 s[0:1], s[0:1], -1
	s_or_b64 s[0:1], s[2:3], s[0:1]
	s_andn2_b64 s[2:3], s[40:41], exec
	s_and_b64 s[0:1], s[0:1], exec
	s_or_b64 s[2:3], s[2:3], s[0:1]
.LBB82_13:                              ;   in Loop: Header=BB82_10 Depth=1
	s_or_b64 exec, exec, s[34:35]
	s_mov_b64 s[0:1], -1
	s_mov_b64 s[36:37], -1
	s_and_saveexec_b64 s[34:35], s[2:3]
	s_cbranch_execz .LBB82_8
; %bb.14:                               ;   in Loop: Header=BB82_10 Depth=1
	global_load_dwordx2 v[17:18], v[11:12], off offset:-4
	v_mov_b32_e32 v19, 1
	s_mov_b64 s[2:3], -1
	s_mov_b64 s[38:39], -1
	s_waitcnt vmcnt(0)
	v_cmp_neq_f32_e32 vcc, s13, v17
	v_cmp_neq_f32_e64 s[0:1], s13, v18
	s_and_b64 s[0:1], vcc, s[0:1]
	s_and_saveexec_b64 s[36:37], s[0:1]
	s_cbranch_execz .LBB82_7
; %bb.15:                               ;   in Loop: Header=BB82_10 Depth=1
	v_cmp_o_f32_e32 vcc, v17, v18
	v_mov_b32_e32 v19, 2
	s_mov_b64 s[0:1], -1
	s_and_saveexec_b64 s[38:39], vcc
	s_cbranch_execz .LBB82_6
; %bb.16:                               ;   in Loop: Header=BB82_10 Depth=1
	s_and_b64 vcc, exec, s[22:23]
	s_cbranch_vccz .LBB82_19
; %bb.17:                               ;   in Loop: Header=BB82_10 Depth=1
	s_and_b64 vcc, exec, s[24:25]
	s_cbranch_vccz .LBB82_20
; %bb.18:                               ;   in Loop: Header=BB82_10 Depth=1
	v_cmp_le_i64_e32 vcc, s[6:7], v[15:16]
	s_mov_b32 s33, 7
	s_and_b64 s[2:3], vcc, exec
	s_cbranch_execz .LBB82_21
	s_branch .LBB82_22
.LBB82_19:                              ;   in Loop: Header=BB82_10 Depth=1
	s_mov_b32 s33, 2
	s_branch .LBB82_22
.LBB82_20:                              ;   in Loop: Header=BB82_10 Depth=1
	s_mov_b64 s[2:3], 0
	s_mov_b32 s33, 2
.LBB82_21:                              ;   in Loop: Header=BB82_10 Depth=1
	v_cmp_ge_i64_e32 vcc, s[6:7], v[15:16]
	s_andn2_b64 s[2:3], s[2:3], exec
	s_and_b64 s[42:43], vcc, exec
	s_mov_b32 s33, 7
	s_or_b64 s[2:3], s[2:3], s[42:43]
.LBB82_22:                              ;   in Loop: Header=BB82_10 Depth=1
	v_mov_b32_e32 v19, s33
	s_mov_b64 s[44:45], -1
	s_and_saveexec_b64 s[42:43], s[2:3]
	s_cbranch_execz .LBB82_5
; %bb.23:                               ;   in Loop: Header=BB82_10 Depth=1
	s_nor_b64 s[0:1], s[14:15], s[40:41]
	s_mov_b64 s[40:41], -1
	v_mov_b32_e32 v19, s33
	s_mov_b64 s[46:47], -1
	s_and_saveexec_b64 s[44:45], s[0:1]
	s_cbranch_execz .LBB82_25
; %bb.24:                               ;   in Loop: Header=BB82_10 Depth=1
	global_load_dwordx2 v[15:16], v[9:10], off
	v_mov_b32_e32 v19, 6
	s_waitcnt vmcnt(0)
	v_subrev_co_u32_e32 v17, vcc, s12, v15
	v_subbrev_co_u32_e32 v18, vcc, 0, v16, vcc
	v_cmp_lt_i64_e32 vcc, -1, v[17:18]
	v_cmp_gt_i64_e64 s[0:1], s[18:19], v[17:18]
	v_cmp_gt_i64_e64 s[2:3], v[13:14], v[15:16]
	s_and_b64 s[0:1], vcc, s[0:1]
	s_xor_b64 s[0:1], s[0:1], -1
	s_or_b64 s[0:1], s[2:3], s[0:1]
	s_orn2_b64 s[46:47], s[0:1], exec
.LBB82_25:                              ;   in Loop: Header=BB82_10 Depth=1
	s_or_b64 exec, exec, s[44:45]
	s_mov_b64 s[2:3], -1
	s_and_saveexec_b64 s[0:1], s[46:47]
	s_cbranch_execz .LBB82_4
; %bb.26:                               ;   in Loop: Header=BB82_10 Depth=1
	v_add_co_u32_e32 v5, vcc, 0x100, v5
	v_addc_co_u32_e32 v6, vcc, 0, v6, vcc
	v_add_co_u32_e32 v7, vcc, 0x800, v7
	v_addc_co_u32_e32 v8, vcc, 0, v8, vcc
	;; [unrolled: 2-line block ×4, first 2 shown]
	v_cmp_ge_i64_e32 vcc, v[5:6], v[3:4]
	s_xor_b64 s[2:3], exec, -1
	s_orn2_b64 s[40:41], vcc, exec
	s_branch .LBB82_4
.LBB82_27:
	s_or_b64 exec, exec, s[8:9]
	s_and_b64 s[8:9], s[10:11], exec
.LBB82_28:
	s_or_b64 exec, exec, s[20:21]
	s_orn2_b64 s[10:11], s[8:9], exec
.LBB82_29:
	s_or_b64 exec, exec, s[16:17]
	s_and_b64 exec, exec, s[10:11]
	s_cbranch_execz .LBB82_31
; %bb.30:
	s_load_dwordx2 s[0:1], s[4:5], 0x48
	v_mov_b32_e32 v0, 0
	s_waitcnt lgkmcnt(0)
	global_store_dword v0, v19, s[0:1]
.LBB82_31:
	s_endpgm
	.section	.rodata,"a",@progbits
	.p2align	6, 0x0
	.amdhsa_kernel _ZN9rocsparseL23check_matrix_csr_deviceILj256ELj256E21rocsparse_complex_numIfEllEEvT3_S3_T2_PKT1_PKS4_PKS3_SB_21rocsparse_index_base_22rocsparse_matrix_type_20rocsparse_fill_mode_23rocsparse_storage_mode_P22rocsparse_data_status_
		.amdhsa_group_segment_fixed_size 0
		.amdhsa_private_segment_fixed_size 0
		.amdhsa_kernarg_size 80
		.amdhsa_user_sgpr_count 6
		.amdhsa_user_sgpr_private_segment_buffer 1
		.amdhsa_user_sgpr_dispatch_ptr 0
		.amdhsa_user_sgpr_queue_ptr 0
		.amdhsa_user_sgpr_kernarg_segment_ptr 1
		.amdhsa_user_sgpr_dispatch_id 0
		.amdhsa_user_sgpr_flat_scratch_init 0
		.amdhsa_user_sgpr_private_segment_size 0
		.amdhsa_uses_dynamic_stack 0
		.amdhsa_system_sgpr_private_segment_wavefront_offset 0
		.amdhsa_system_sgpr_workgroup_id_x 1
		.amdhsa_system_sgpr_workgroup_id_y 0
		.amdhsa_system_sgpr_workgroup_id_z 0
		.amdhsa_system_sgpr_workgroup_info 0
		.amdhsa_system_vgpr_workitem_id 0
		.amdhsa_next_free_vgpr 24
		.amdhsa_next_free_sgpr 48
		.amdhsa_reserve_vcc 1
		.amdhsa_reserve_flat_scratch 0
		.amdhsa_float_round_mode_32 0
		.amdhsa_float_round_mode_16_64 0
		.amdhsa_float_denorm_mode_32 3
		.amdhsa_float_denorm_mode_16_64 3
		.amdhsa_dx10_clamp 1
		.amdhsa_ieee_mode 1
		.amdhsa_fp16_overflow 0
		.amdhsa_exception_fp_ieee_invalid_op 0
		.amdhsa_exception_fp_denorm_src 0
		.amdhsa_exception_fp_ieee_div_zero 0
		.amdhsa_exception_fp_ieee_overflow 0
		.amdhsa_exception_fp_ieee_underflow 0
		.amdhsa_exception_fp_ieee_inexact 0
		.amdhsa_exception_int_div_zero 0
	.end_amdhsa_kernel
	.section	.text._ZN9rocsparseL23check_matrix_csr_deviceILj256ELj256E21rocsparse_complex_numIfEllEEvT3_S3_T2_PKT1_PKS4_PKS3_SB_21rocsparse_index_base_22rocsparse_matrix_type_20rocsparse_fill_mode_23rocsparse_storage_mode_P22rocsparse_data_status_,"axG",@progbits,_ZN9rocsparseL23check_matrix_csr_deviceILj256ELj256E21rocsparse_complex_numIfEllEEvT3_S3_T2_PKT1_PKS4_PKS3_SB_21rocsparse_index_base_22rocsparse_matrix_type_20rocsparse_fill_mode_23rocsparse_storage_mode_P22rocsparse_data_status_,comdat
.Lfunc_end82:
	.size	_ZN9rocsparseL23check_matrix_csr_deviceILj256ELj256E21rocsparse_complex_numIfEllEEvT3_S3_T2_PKT1_PKS4_PKS3_SB_21rocsparse_index_base_22rocsparse_matrix_type_20rocsparse_fill_mode_23rocsparse_storage_mode_P22rocsparse_data_status_, .Lfunc_end82-_ZN9rocsparseL23check_matrix_csr_deviceILj256ELj256E21rocsparse_complex_numIfEllEEvT3_S3_T2_PKT1_PKS4_PKS3_SB_21rocsparse_index_base_22rocsparse_matrix_type_20rocsparse_fill_mode_23rocsparse_storage_mode_P22rocsparse_data_status_
                                        ; -- End function
	.set _ZN9rocsparseL23check_matrix_csr_deviceILj256ELj256E21rocsparse_complex_numIfEllEEvT3_S3_T2_PKT1_PKS4_PKS3_SB_21rocsparse_index_base_22rocsparse_matrix_type_20rocsparse_fill_mode_23rocsparse_storage_mode_P22rocsparse_data_status_.num_vgpr, 24
	.set _ZN9rocsparseL23check_matrix_csr_deviceILj256ELj256E21rocsparse_complex_numIfEllEEvT3_S3_T2_PKT1_PKS4_PKS3_SB_21rocsparse_index_base_22rocsparse_matrix_type_20rocsparse_fill_mode_23rocsparse_storage_mode_P22rocsparse_data_status_.num_agpr, 0
	.set _ZN9rocsparseL23check_matrix_csr_deviceILj256ELj256E21rocsparse_complex_numIfEllEEvT3_S3_T2_PKT1_PKS4_PKS3_SB_21rocsparse_index_base_22rocsparse_matrix_type_20rocsparse_fill_mode_23rocsparse_storage_mode_P22rocsparse_data_status_.numbered_sgpr, 48
	.set _ZN9rocsparseL23check_matrix_csr_deviceILj256ELj256E21rocsparse_complex_numIfEllEEvT3_S3_T2_PKT1_PKS4_PKS3_SB_21rocsparse_index_base_22rocsparse_matrix_type_20rocsparse_fill_mode_23rocsparse_storage_mode_P22rocsparse_data_status_.num_named_barrier, 0
	.set _ZN9rocsparseL23check_matrix_csr_deviceILj256ELj256E21rocsparse_complex_numIfEllEEvT3_S3_T2_PKT1_PKS4_PKS3_SB_21rocsparse_index_base_22rocsparse_matrix_type_20rocsparse_fill_mode_23rocsparse_storage_mode_P22rocsparse_data_status_.private_seg_size, 0
	.set _ZN9rocsparseL23check_matrix_csr_deviceILj256ELj256E21rocsparse_complex_numIfEllEEvT3_S3_T2_PKT1_PKS4_PKS3_SB_21rocsparse_index_base_22rocsparse_matrix_type_20rocsparse_fill_mode_23rocsparse_storage_mode_P22rocsparse_data_status_.uses_vcc, 1
	.set _ZN9rocsparseL23check_matrix_csr_deviceILj256ELj256E21rocsparse_complex_numIfEllEEvT3_S3_T2_PKT1_PKS4_PKS3_SB_21rocsparse_index_base_22rocsparse_matrix_type_20rocsparse_fill_mode_23rocsparse_storage_mode_P22rocsparse_data_status_.uses_flat_scratch, 0
	.set _ZN9rocsparseL23check_matrix_csr_deviceILj256ELj256E21rocsparse_complex_numIfEllEEvT3_S3_T2_PKT1_PKS4_PKS3_SB_21rocsparse_index_base_22rocsparse_matrix_type_20rocsparse_fill_mode_23rocsparse_storage_mode_P22rocsparse_data_status_.has_dyn_sized_stack, 0
	.set _ZN9rocsparseL23check_matrix_csr_deviceILj256ELj256E21rocsparse_complex_numIfEllEEvT3_S3_T2_PKT1_PKS4_PKS3_SB_21rocsparse_index_base_22rocsparse_matrix_type_20rocsparse_fill_mode_23rocsparse_storage_mode_P22rocsparse_data_status_.has_recursion, 0
	.set _ZN9rocsparseL23check_matrix_csr_deviceILj256ELj256E21rocsparse_complex_numIfEllEEvT3_S3_T2_PKT1_PKS4_PKS3_SB_21rocsparse_index_base_22rocsparse_matrix_type_20rocsparse_fill_mode_23rocsparse_storage_mode_P22rocsparse_data_status_.has_indirect_call, 0
	.section	.AMDGPU.csdata,"",@progbits
; Kernel info:
; codeLenInByte = 964
; TotalNumSgprs: 52
; NumVgprs: 24
; ScratchSize: 0
; MemoryBound: 0
; FloatMode: 240
; IeeeMode: 1
; LDSByteSize: 0 bytes/workgroup (compile time only)
; SGPRBlocks: 6
; VGPRBlocks: 5
; NumSGPRsForWavesPerEU: 52
; NumVGPRsForWavesPerEU: 24
; Occupancy: 10
; WaveLimiterHint : 0
; COMPUTE_PGM_RSRC2:SCRATCH_EN: 0
; COMPUTE_PGM_RSRC2:USER_SGPR: 6
; COMPUTE_PGM_RSRC2:TRAP_HANDLER: 0
; COMPUTE_PGM_RSRC2:TGID_X_EN: 1
; COMPUTE_PGM_RSRC2:TGID_Y_EN: 0
; COMPUTE_PGM_RSRC2:TGID_Z_EN: 0
; COMPUTE_PGM_RSRC2:TIDIG_COMP_CNT: 0
	.section	.text._ZN9rocsparseL23check_matrix_csr_deviceILj256ELj4E21rocsparse_complex_numIdEllEEvT3_S3_T2_PKT1_PKS4_PKS3_SB_21rocsparse_index_base_22rocsparse_matrix_type_20rocsparse_fill_mode_23rocsparse_storage_mode_P22rocsparse_data_status_,"axG",@progbits,_ZN9rocsparseL23check_matrix_csr_deviceILj256ELj4E21rocsparse_complex_numIdEllEEvT3_S3_T2_PKT1_PKS4_PKS3_SB_21rocsparse_index_base_22rocsparse_matrix_type_20rocsparse_fill_mode_23rocsparse_storage_mode_P22rocsparse_data_status_,comdat
	.globl	_ZN9rocsparseL23check_matrix_csr_deviceILj256ELj4E21rocsparse_complex_numIdEllEEvT3_S3_T2_PKT1_PKS4_PKS3_SB_21rocsparse_index_base_22rocsparse_matrix_type_20rocsparse_fill_mode_23rocsparse_storage_mode_P22rocsparse_data_status_ ; -- Begin function _ZN9rocsparseL23check_matrix_csr_deviceILj256ELj4E21rocsparse_complex_numIdEllEEvT3_S3_T2_PKT1_PKS4_PKS3_SB_21rocsparse_index_base_22rocsparse_matrix_type_20rocsparse_fill_mode_23rocsparse_storage_mode_P22rocsparse_data_status_
	.p2align	8
	.type	_ZN9rocsparseL23check_matrix_csr_deviceILj256ELj4E21rocsparse_complex_numIdEllEEvT3_S3_T2_PKT1_PKS4_PKS3_SB_21rocsparse_index_base_22rocsparse_matrix_type_20rocsparse_fill_mode_23rocsparse_storage_mode_P22rocsparse_data_status_,@function
_ZN9rocsparseL23check_matrix_csr_deviceILj256ELj4E21rocsparse_complex_numIdEllEEvT3_S3_T2_PKT1_PKS4_PKS3_SB_21rocsparse_index_base_22rocsparse_matrix_type_20rocsparse_fill_mode_23rocsparse_storage_mode_P22rocsparse_data_status_: ; @_ZN9rocsparseL23check_matrix_csr_deviceILj256ELj4E21rocsparse_complex_numIdEllEEvT3_S3_T2_PKT1_PKS4_PKS3_SB_21rocsparse_index_base_22rocsparse_matrix_type_20rocsparse_fill_mode_23rocsparse_storage_mode_P22rocsparse_data_status_
; %bb.0:
	s_load_dwordx4 s[16:19], s[4:5], 0x0
	v_lshl_or_b32 v1, s6, 8, v0
	v_lshrrev_b32_e32 v4, 2, v1
	v_mov_b32_e32 v5, 0
	s_waitcnt lgkmcnt(0)
	v_cmp_gt_i64_e32 vcc, s[16:17], v[4:5]
	s_and_saveexec_b64 s[0:1], vcc
	s_cbranch_execz .LBB83_31
; %bb.1:
	s_load_dwordx2 s[0:1], s[4:5], 0x20
	v_lshlrev_b64 v[1:2], 3, v[4:5]
	v_mov_b32_e32 v22, 3
	s_mov_b64 s[10:11], -1
	s_mov_b64 s[8:9], 0
	s_waitcnt lgkmcnt(0)
	v_mov_b32_e32 v3, s1
	v_add_co_u32_e32 v1, vcc, s0, v1
	v_addc_co_u32_e32 v2, vcc, v3, v2, vcc
	global_load_dwordx4 v[10:13], v[1:2], off
	s_load_dwordx2 s[0:1], s[0:1], 0x0
	s_waitcnt lgkmcnt(0)
	v_mov_b32_e32 v1, s1
	s_waitcnt vmcnt(0)
	v_subrev_co_u32_e32 v6, vcc, s0, v10
	v_subb_co_u32_e32 v7, vcc, v11, v1, vcc
	v_subrev_co_u32_e32 v8, vcc, s0, v12
	v_subb_co_u32_e32 v9, vcc, v13, v1, vcc
	v_cmp_gt_i64_e64 s[0:1], 0, v[8:9]
	v_cmp_lt_i64_e64 s[2:3], v[12:13], v[10:11]
	v_cmp_lt_i64_e32 vcc, -1, v[6:7]
	s_or_b64 s[0:1], s[0:1], s[2:3]
	s_xor_b64 s[0:1], s[0:1], -1
	s_and_b64 s[0:1], vcc, s[0:1]
	s_and_saveexec_b64 s[6:7], s[0:1]
	s_cbranch_execz .LBB83_29
; %bb.2:
	v_and_b32_e32 v0, 3, v0
	v_add_co_u32_e32 v10, vcc, v6, v0
	v_addc_co_u32_e32 v11, vcc, 0, v7, vcc
	v_cmp_lt_u64_e32 vcc, v[10:11], v[8:9]
	v_mov_b32_e32 v22, 3
	s_and_saveexec_b64 s[16:17], vcc
	s_cbranch_execz .LBB83_28
; %bb.3:
	s_load_dwordx8 s[8:15], s[4:5], 0x28
	s_load_dwordx2 s[0:1], s[4:5], 0x18
	v_lshlrev_b64 v[0:1], 3, v[10:11]
                                        ; implicit-def: $sgpr24_sgpr25
                                        ; implicit-def: $sgpr26_sgpr27
                                        ; implicit-def: $sgpr28_sgpr29
	v_add_co_u32_e32 v0, vcc, -8, v0
	v_addc_co_u32_e32 v1, vcc, -1, v1, vcc
	s_waitcnt lgkmcnt(0)
	v_mov_b32_e32 v2, s11
	v_add_co_u32_e32 v12, vcc, s10, v0
	v_addc_co_u32_e32 v13, vcc, v2, v1, vcc
	v_mov_b32_e32 v2, s9
	v_add_co_u32_e32 v14, vcc, s8, v0
	v_addc_co_u32_e32 v15, vcc, v2, v1, vcc
	v_lshlrev_b64 v[0:1], 4, v[10:11]
	s_cmp_lg_u32 s13, 0
	v_mov_b32_e32 v2, s1
	v_add_co_u32_e32 v0, vcc, s0, v0
	s_cselect_b64 s[20:21], -1, 0
	s_cmp_lg_u32 s14, 0
	v_addc_co_u32_e32 v1, vcc, v2, v1, vcc
	s_cselect_b64 s[22:23], -1, 0
	s_cmp_lg_u32 s15, 0
	v_add_co_u32_e32 v16, vcc, 8, v0
	s_mov_b32 s10, 0
	s_cselect_b64 s[14:15], -1, 0
	v_addc_co_u32_e32 v17, vcc, 0, v1, vcc
	s_mov_b32 s11, 0x7ff00000
	s_mov_b64 s[8:9], 0
	s_branch .LBB83_10
.LBB83_4:                               ;   in Loop: Header=BB83_10 Depth=1
	s_or_b64 exec, exec, s[0:1]
	s_orn2_b64 s[44:45], s[2:3], exec
	s_orn2_b64 s[0:1], s[40:41], exec
.LBB83_5:                               ;   in Loop: Header=BB83_10 Depth=1
	s_or_b64 exec, exec, s[42:43]
	s_orn2_b64 s[2:3], s[44:45], exec
	s_orn2_b64 s[0:1], s[0:1], exec
.LBB83_6:                               ;   in Loop: Header=BB83_10 Depth=1
	s_or_b64 exec, exec, s[38:39]
	s_orn2_b64 s[38:39], s[2:3], exec
	s_orn2_b64 s[2:3], s[0:1], exec
.LBB83_7:                               ;   in Loop: Header=BB83_10 Depth=1
	s_or_b64 exec, exec, s[36:37]
	s_orn2_b64 s[36:37], s[38:39], exec
	s_orn2_b64 s[0:1], s[2:3], exec
.LBB83_8:                               ;   in Loop: Header=BB83_10 Depth=1
	s_or_b64 exec, exec, s[34:35]
	s_andn2_b64 s[2:3], s[28:29], exec
	s_and_b64 s[28:29], s[36:37], exec
	s_or_b64 s[28:29], s[2:3], s[28:29]
	s_andn2_b64 s[2:3], s[26:27], exec
	s_and_b64 s[0:1], s[0:1], exec
	s_or_b64 s[26:27], s[2:3], s[0:1]
.LBB83_9:                               ;   in Loop: Header=BB83_10 Depth=1
	s_or_b64 exec, exec, s[30:31]
	s_and_b64 s[0:1], exec, s[26:27]
	s_or_b64 s[8:9], s[0:1], s[8:9]
	s_andn2_b64 s[0:1], s[24:25], exec
	s_and_b64 s[2:3], s[28:29], exec
	s_or_b64 s[24:25], s[0:1], s[2:3]
	s_andn2_b64 exec, exec, s[8:9]
	s_cbranch_execz .LBB83_27
.LBB83_10:                              ; =>This Inner Loop Header: Depth=1
	global_load_dwordx2 v[18:19], v[14:15], off offset:8
	v_mov_b32_e32 v22, 4
	s_or_b64 s[28:29], s[28:29], exec
	s_or_b64 s[26:27], s[26:27], exec
	s_waitcnt vmcnt(0)
	v_subrev_co_u32_e32 v20, vcc, s12, v18
	v_subbrev_co_u32_e32 v21, vcc, 0, v19, vcc
	v_cmp_lt_i64_e32 vcc, -1, v[20:21]
	v_cmp_gt_i64_e64 s[0:1], s[18:19], v[20:21]
	s_and_b64 s[0:1], vcc, s[0:1]
	s_and_saveexec_b64 s[30:31], s[0:1]
	s_cbranch_execz .LBB83_9
; %bb.11:                               ;   in Loop: Header=BB83_10 Depth=1
	v_cmp_le_i64_e64 s[40:41], v[10:11], v[6:7]
	v_cmp_gt_i64_e32 vcc, v[10:11], v[6:7]
	v_mov_b32_e32 v22, 4
	s_mov_b64 s[2:3], s[40:41]
	s_and_saveexec_b64 s[34:35], vcc
	s_cbranch_execz .LBB83_13
; %bb.12:                               ;   in Loop: Header=BB83_10 Depth=1
	global_load_dwordx4 v[0:3], v[12:13], off
	s_waitcnt vmcnt(0)
	v_subrev_co_u32_e32 v22, vcc, s12, v0
	v_subbrev_co_u32_e32 v23, vcc, 0, v1, vcc
	v_cmp_lt_i64_e64 s[0:1], -1, v[22:23]
	v_cmp_gt_i64_e64 s[2:3], s[18:19], v[22:23]
	v_cmp_ne_u64_e32 vcc, v[2:3], v[0:1]
	s_and_b64 s[0:1], s[0:1], s[2:3]
	s_xor_b64 s[0:1], s[0:1], -1
	s_or_b64 s[0:1], vcc, s[0:1]
	s_andn2_b64 s[2:3], s[40:41], exec
	s_and_b64 s[0:1], s[0:1], exec
	v_mov_b32_e32 v22, 5
	s_or_b64 s[2:3], s[2:3], s[0:1]
.LBB83_13:                              ;   in Loop: Header=BB83_10 Depth=1
	s_or_b64 exec, exec, s[34:35]
	s_mov_b64 s[0:1], -1
	s_mov_b64 s[36:37], -1
	s_and_saveexec_b64 s[34:35], s[2:3]
	s_cbranch_execz .LBB83_8
; %bb.14:                               ;   in Loop: Header=BB83_10 Depth=1
	global_load_dwordx4 v[0:3], v[16:17], off offset:-8
	v_mov_b32_e32 v22, 1
	s_mov_b64 s[2:3], -1
	s_mov_b64 s[38:39], -1
	s_waitcnt vmcnt(0)
	v_cmp_neq_f64_e32 vcc, s[10:11], v[0:1]
	v_cmp_neq_f64_e64 s[0:1], s[10:11], v[2:3]
	s_and_b64 s[0:1], vcc, s[0:1]
	s_and_saveexec_b64 s[36:37], s[0:1]
	s_cbranch_execz .LBB83_7
; %bb.15:                               ;   in Loop: Header=BB83_10 Depth=1
	v_cmp_o_f64_e32 vcc, v[0:1], v[2:3]
	v_mov_b32_e32 v22, 2
	s_mov_b64 s[0:1], -1
	s_and_saveexec_b64 s[38:39], vcc
	s_cbranch_execz .LBB83_6
; %bb.16:                               ;   in Loop: Header=BB83_10 Depth=1
	s_and_b64 vcc, exec, s[20:21]
	s_cbranch_vccz .LBB83_19
; %bb.17:                               ;   in Loop: Header=BB83_10 Depth=1
	s_and_b64 vcc, exec, s[22:23]
	s_cbranch_vccz .LBB83_20
; %bb.18:                               ;   in Loop: Header=BB83_10 Depth=1
	v_cmp_ge_i64_e32 vcc, v[20:21], v[4:5]
	s_mov_b32 s13, 7
	s_and_b64 s[2:3], vcc, exec
	s_cbranch_execz .LBB83_21
	s_branch .LBB83_22
.LBB83_19:                              ;   in Loop: Header=BB83_10 Depth=1
	s_mov_b32 s13, 2
	s_branch .LBB83_22
.LBB83_20:                              ;   in Loop: Header=BB83_10 Depth=1
	s_mov_b64 s[2:3], 0
	s_mov_b32 s13, 2
.LBB83_21:                              ;   in Loop: Header=BB83_10 Depth=1
	v_cmp_le_i64_e32 vcc, v[20:21], v[4:5]
	s_andn2_b64 s[2:3], s[2:3], exec
	s_and_b64 s[42:43], vcc, exec
	s_mov_b32 s13, 7
	s_or_b64 s[2:3], s[2:3], s[42:43]
.LBB83_22:                              ;   in Loop: Header=BB83_10 Depth=1
	v_mov_b32_e32 v22, s13
	s_mov_b64 s[44:45], -1
	s_and_saveexec_b64 s[42:43], s[2:3]
	s_cbranch_execz .LBB83_5
; %bb.23:                               ;   in Loop: Header=BB83_10 Depth=1
	s_nor_b64 s[0:1], s[14:15], s[40:41]
	s_mov_b64 s[40:41], -1
	v_mov_b32_e32 v22, s13
	s_mov_b64 s[46:47], -1
	s_and_saveexec_b64 s[44:45], s[0:1]
	s_cbranch_execz .LBB83_25
; %bb.24:                               ;   in Loop: Header=BB83_10 Depth=1
	global_load_dwordx2 v[0:1], v[14:15], off
	v_mov_b32_e32 v22, 6
	s_waitcnt vmcnt(0)
	v_subrev_co_u32_e32 v2, vcc, s12, v0
	v_subbrev_co_u32_e32 v3, vcc, 0, v1, vcc
	v_cmp_lt_i64_e32 vcc, -1, v[2:3]
	v_cmp_gt_i64_e64 s[0:1], s[18:19], v[2:3]
	v_cmp_gt_i64_e64 s[2:3], v[18:19], v[0:1]
	s_and_b64 s[0:1], vcc, s[0:1]
	s_xor_b64 s[0:1], s[0:1], -1
	s_or_b64 s[0:1], s[2:3], s[0:1]
	s_orn2_b64 s[46:47], s[0:1], exec
.LBB83_25:                              ;   in Loop: Header=BB83_10 Depth=1
	s_or_b64 exec, exec, s[44:45]
	s_mov_b64 s[2:3], -1
	s_and_saveexec_b64 s[0:1], s[46:47]
	s_cbranch_execz .LBB83_4
; %bb.26:                               ;   in Loop: Header=BB83_10 Depth=1
	v_add_co_u32_e32 v10, vcc, 4, v10
	v_addc_co_u32_e32 v11, vcc, 0, v11, vcc
	v_add_co_u32_e32 v12, vcc, 32, v12
	v_addc_co_u32_e32 v13, vcc, 0, v13, vcc
	;; [unrolled: 2-line block ×4, first 2 shown]
	v_cmp_ge_i64_e32 vcc, v[10:11], v[8:9]
	s_xor_b64 s[2:3], exec, -1
	s_orn2_b64 s[40:41], vcc, exec
	s_branch .LBB83_4
.LBB83_27:
	s_or_b64 exec, exec, s[8:9]
	s_and_b64 s[8:9], s[24:25], exec
.LBB83_28:
	s_or_b64 exec, exec, s[16:17]
	s_orn2_b64 s[10:11], s[8:9], exec
.LBB83_29:
	s_or_b64 exec, exec, s[6:7]
	s_and_b64 exec, exec, s[10:11]
	s_cbranch_execz .LBB83_31
; %bb.30:
	s_load_dwordx2 s[0:1], s[4:5], 0x48
	v_mov_b32_e32 v0, 0
	s_waitcnt lgkmcnt(0)
	global_store_dword v0, v22, s[0:1]
.LBB83_31:
	s_endpgm
	.section	.rodata,"a",@progbits
	.p2align	6, 0x0
	.amdhsa_kernel _ZN9rocsparseL23check_matrix_csr_deviceILj256ELj4E21rocsparse_complex_numIdEllEEvT3_S3_T2_PKT1_PKS4_PKS3_SB_21rocsparse_index_base_22rocsparse_matrix_type_20rocsparse_fill_mode_23rocsparse_storage_mode_P22rocsparse_data_status_
		.amdhsa_group_segment_fixed_size 0
		.amdhsa_private_segment_fixed_size 0
		.amdhsa_kernarg_size 80
		.amdhsa_user_sgpr_count 6
		.amdhsa_user_sgpr_private_segment_buffer 1
		.amdhsa_user_sgpr_dispatch_ptr 0
		.amdhsa_user_sgpr_queue_ptr 0
		.amdhsa_user_sgpr_kernarg_segment_ptr 1
		.amdhsa_user_sgpr_dispatch_id 0
		.amdhsa_user_sgpr_flat_scratch_init 0
		.amdhsa_user_sgpr_private_segment_size 0
		.amdhsa_uses_dynamic_stack 0
		.amdhsa_system_sgpr_private_segment_wavefront_offset 0
		.amdhsa_system_sgpr_workgroup_id_x 1
		.amdhsa_system_sgpr_workgroup_id_y 0
		.amdhsa_system_sgpr_workgroup_id_z 0
		.amdhsa_system_sgpr_workgroup_info 0
		.amdhsa_system_vgpr_workitem_id 0
		.amdhsa_next_free_vgpr 24
		.amdhsa_next_free_sgpr 48
		.amdhsa_reserve_vcc 1
		.amdhsa_reserve_flat_scratch 0
		.amdhsa_float_round_mode_32 0
		.amdhsa_float_round_mode_16_64 0
		.amdhsa_float_denorm_mode_32 3
		.amdhsa_float_denorm_mode_16_64 3
		.amdhsa_dx10_clamp 1
		.amdhsa_ieee_mode 1
		.amdhsa_fp16_overflow 0
		.amdhsa_exception_fp_ieee_invalid_op 0
		.amdhsa_exception_fp_denorm_src 0
		.amdhsa_exception_fp_ieee_div_zero 0
		.amdhsa_exception_fp_ieee_overflow 0
		.amdhsa_exception_fp_ieee_underflow 0
		.amdhsa_exception_fp_ieee_inexact 0
		.amdhsa_exception_int_div_zero 0
	.end_amdhsa_kernel
	.section	.text._ZN9rocsparseL23check_matrix_csr_deviceILj256ELj4E21rocsparse_complex_numIdEllEEvT3_S3_T2_PKT1_PKS4_PKS3_SB_21rocsparse_index_base_22rocsparse_matrix_type_20rocsparse_fill_mode_23rocsparse_storage_mode_P22rocsparse_data_status_,"axG",@progbits,_ZN9rocsparseL23check_matrix_csr_deviceILj256ELj4E21rocsparse_complex_numIdEllEEvT3_S3_T2_PKT1_PKS4_PKS3_SB_21rocsparse_index_base_22rocsparse_matrix_type_20rocsparse_fill_mode_23rocsparse_storage_mode_P22rocsparse_data_status_,comdat
.Lfunc_end83:
	.size	_ZN9rocsparseL23check_matrix_csr_deviceILj256ELj4E21rocsparse_complex_numIdEllEEvT3_S3_T2_PKT1_PKS4_PKS3_SB_21rocsparse_index_base_22rocsparse_matrix_type_20rocsparse_fill_mode_23rocsparse_storage_mode_P22rocsparse_data_status_, .Lfunc_end83-_ZN9rocsparseL23check_matrix_csr_deviceILj256ELj4E21rocsparse_complex_numIdEllEEvT3_S3_T2_PKT1_PKS4_PKS3_SB_21rocsparse_index_base_22rocsparse_matrix_type_20rocsparse_fill_mode_23rocsparse_storage_mode_P22rocsparse_data_status_
                                        ; -- End function
	.set _ZN9rocsparseL23check_matrix_csr_deviceILj256ELj4E21rocsparse_complex_numIdEllEEvT3_S3_T2_PKT1_PKS4_PKS3_SB_21rocsparse_index_base_22rocsparse_matrix_type_20rocsparse_fill_mode_23rocsparse_storage_mode_P22rocsparse_data_status_.num_vgpr, 24
	.set _ZN9rocsparseL23check_matrix_csr_deviceILj256ELj4E21rocsparse_complex_numIdEllEEvT3_S3_T2_PKT1_PKS4_PKS3_SB_21rocsparse_index_base_22rocsparse_matrix_type_20rocsparse_fill_mode_23rocsparse_storage_mode_P22rocsparse_data_status_.num_agpr, 0
	.set _ZN9rocsparseL23check_matrix_csr_deviceILj256ELj4E21rocsparse_complex_numIdEllEEvT3_S3_T2_PKT1_PKS4_PKS3_SB_21rocsparse_index_base_22rocsparse_matrix_type_20rocsparse_fill_mode_23rocsparse_storage_mode_P22rocsparse_data_status_.numbered_sgpr, 48
	.set _ZN9rocsparseL23check_matrix_csr_deviceILj256ELj4E21rocsparse_complex_numIdEllEEvT3_S3_T2_PKT1_PKS4_PKS3_SB_21rocsparse_index_base_22rocsparse_matrix_type_20rocsparse_fill_mode_23rocsparse_storage_mode_P22rocsparse_data_status_.num_named_barrier, 0
	.set _ZN9rocsparseL23check_matrix_csr_deviceILj256ELj4E21rocsparse_complex_numIdEllEEvT3_S3_T2_PKT1_PKS4_PKS3_SB_21rocsparse_index_base_22rocsparse_matrix_type_20rocsparse_fill_mode_23rocsparse_storage_mode_P22rocsparse_data_status_.private_seg_size, 0
	.set _ZN9rocsparseL23check_matrix_csr_deviceILj256ELj4E21rocsparse_complex_numIdEllEEvT3_S3_T2_PKT1_PKS4_PKS3_SB_21rocsparse_index_base_22rocsparse_matrix_type_20rocsparse_fill_mode_23rocsparse_storage_mode_P22rocsparse_data_status_.uses_vcc, 1
	.set _ZN9rocsparseL23check_matrix_csr_deviceILj256ELj4E21rocsparse_complex_numIdEllEEvT3_S3_T2_PKT1_PKS4_PKS3_SB_21rocsparse_index_base_22rocsparse_matrix_type_20rocsparse_fill_mode_23rocsparse_storage_mode_P22rocsparse_data_status_.uses_flat_scratch, 0
	.set _ZN9rocsparseL23check_matrix_csr_deviceILj256ELj4E21rocsparse_complex_numIdEllEEvT3_S3_T2_PKT1_PKS4_PKS3_SB_21rocsparse_index_base_22rocsparse_matrix_type_20rocsparse_fill_mode_23rocsparse_storage_mode_P22rocsparse_data_status_.has_dyn_sized_stack, 0
	.set _ZN9rocsparseL23check_matrix_csr_deviceILj256ELj4E21rocsparse_complex_numIdEllEEvT3_S3_T2_PKT1_PKS4_PKS3_SB_21rocsparse_index_base_22rocsparse_matrix_type_20rocsparse_fill_mode_23rocsparse_storage_mode_P22rocsparse_data_status_.has_recursion, 0
	.set _ZN9rocsparseL23check_matrix_csr_deviceILj256ELj4E21rocsparse_complex_numIdEllEEvT3_S3_T2_PKT1_PKS4_PKS3_SB_21rocsparse_index_base_22rocsparse_matrix_type_20rocsparse_fill_mode_23rocsparse_storage_mode_P22rocsparse_data_status_.has_indirect_call, 0
	.section	.AMDGPU.csdata,"",@progbits
; Kernel info:
; codeLenInByte = 968
; TotalNumSgprs: 52
; NumVgprs: 24
; ScratchSize: 0
; MemoryBound: 0
; FloatMode: 240
; IeeeMode: 1
; LDSByteSize: 0 bytes/workgroup (compile time only)
; SGPRBlocks: 6
; VGPRBlocks: 5
; NumSGPRsForWavesPerEU: 52
; NumVGPRsForWavesPerEU: 24
; Occupancy: 10
; WaveLimiterHint : 0
; COMPUTE_PGM_RSRC2:SCRATCH_EN: 0
; COMPUTE_PGM_RSRC2:USER_SGPR: 6
; COMPUTE_PGM_RSRC2:TRAP_HANDLER: 0
; COMPUTE_PGM_RSRC2:TGID_X_EN: 1
; COMPUTE_PGM_RSRC2:TGID_Y_EN: 0
; COMPUTE_PGM_RSRC2:TGID_Z_EN: 0
; COMPUTE_PGM_RSRC2:TIDIG_COMP_CNT: 0
	.section	.text._ZN9rocsparseL23check_matrix_csr_deviceILj256ELj8E21rocsparse_complex_numIdEllEEvT3_S3_T2_PKT1_PKS4_PKS3_SB_21rocsparse_index_base_22rocsparse_matrix_type_20rocsparse_fill_mode_23rocsparse_storage_mode_P22rocsparse_data_status_,"axG",@progbits,_ZN9rocsparseL23check_matrix_csr_deviceILj256ELj8E21rocsparse_complex_numIdEllEEvT3_S3_T2_PKT1_PKS4_PKS3_SB_21rocsparse_index_base_22rocsparse_matrix_type_20rocsparse_fill_mode_23rocsparse_storage_mode_P22rocsparse_data_status_,comdat
	.globl	_ZN9rocsparseL23check_matrix_csr_deviceILj256ELj8E21rocsparse_complex_numIdEllEEvT3_S3_T2_PKT1_PKS4_PKS3_SB_21rocsparse_index_base_22rocsparse_matrix_type_20rocsparse_fill_mode_23rocsparse_storage_mode_P22rocsparse_data_status_ ; -- Begin function _ZN9rocsparseL23check_matrix_csr_deviceILj256ELj8E21rocsparse_complex_numIdEllEEvT3_S3_T2_PKT1_PKS4_PKS3_SB_21rocsparse_index_base_22rocsparse_matrix_type_20rocsparse_fill_mode_23rocsparse_storage_mode_P22rocsparse_data_status_
	.p2align	8
	.type	_ZN9rocsparseL23check_matrix_csr_deviceILj256ELj8E21rocsparse_complex_numIdEllEEvT3_S3_T2_PKT1_PKS4_PKS3_SB_21rocsparse_index_base_22rocsparse_matrix_type_20rocsparse_fill_mode_23rocsparse_storage_mode_P22rocsparse_data_status_,@function
_ZN9rocsparseL23check_matrix_csr_deviceILj256ELj8E21rocsparse_complex_numIdEllEEvT3_S3_T2_PKT1_PKS4_PKS3_SB_21rocsparse_index_base_22rocsparse_matrix_type_20rocsparse_fill_mode_23rocsparse_storage_mode_P22rocsparse_data_status_: ; @_ZN9rocsparseL23check_matrix_csr_deviceILj256ELj8E21rocsparse_complex_numIdEllEEvT3_S3_T2_PKT1_PKS4_PKS3_SB_21rocsparse_index_base_22rocsparse_matrix_type_20rocsparse_fill_mode_23rocsparse_storage_mode_P22rocsparse_data_status_
; %bb.0:
	s_load_dwordx4 s[16:19], s[4:5], 0x0
	v_lshl_or_b32 v1, s6, 8, v0
	v_lshrrev_b32_e32 v4, 3, v1
	v_mov_b32_e32 v5, 0
	s_waitcnt lgkmcnt(0)
	v_cmp_gt_i64_e32 vcc, s[16:17], v[4:5]
	s_and_saveexec_b64 s[0:1], vcc
	s_cbranch_execz .LBB84_31
; %bb.1:
	s_load_dwordx2 s[0:1], s[4:5], 0x20
	v_lshlrev_b32_e32 v1, 3, v4
	v_mov_b32_e32 v22, 3
	s_mov_b64 s[10:11], -1
	s_mov_b64 s[8:9], 0
	s_waitcnt lgkmcnt(0)
	global_load_dwordx4 v[10:13], v1, s[0:1]
	s_load_dwordx2 s[0:1], s[0:1], 0x0
	s_waitcnt lgkmcnt(0)
	v_mov_b32_e32 v1, s1
	s_waitcnt vmcnt(0)
	v_subrev_co_u32_e32 v6, vcc, s0, v10
	v_subb_co_u32_e32 v7, vcc, v11, v1, vcc
	v_subrev_co_u32_e32 v8, vcc, s0, v12
	v_subb_co_u32_e32 v9, vcc, v13, v1, vcc
	v_cmp_gt_i64_e64 s[0:1], 0, v[8:9]
	v_cmp_lt_i64_e64 s[2:3], v[12:13], v[10:11]
	v_cmp_lt_i64_e32 vcc, -1, v[6:7]
	s_or_b64 s[0:1], s[0:1], s[2:3]
	s_xor_b64 s[0:1], s[0:1], -1
	s_and_b64 s[0:1], vcc, s[0:1]
	s_and_saveexec_b64 s[6:7], s[0:1]
	s_cbranch_execz .LBB84_29
; %bb.2:
	v_and_b32_e32 v0, 7, v0
	v_add_co_u32_e32 v10, vcc, v6, v0
	v_addc_co_u32_e32 v11, vcc, 0, v7, vcc
	v_cmp_lt_u64_e32 vcc, v[10:11], v[8:9]
	v_mov_b32_e32 v22, 3
	s_and_saveexec_b64 s[16:17], vcc
	s_cbranch_execz .LBB84_28
; %bb.3:
	s_load_dwordx8 s[8:15], s[4:5], 0x28
	s_load_dwordx2 s[0:1], s[4:5], 0x18
	v_lshlrev_b64 v[0:1], 3, v[10:11]
                                        ; implicit-def: $sgpr24_sgpr25
                                        ; implicit-def: $sgpr26_sgpr27
                                        ; implicit-def: $sgpr28_sgpr29
	v_add_co_u32_e32 v0, vcc, -8, v0
	v_addc_co_u32_e32 v1, vcc, -1, v1, vcc
	s_waitcnt lgkmcnt(0)
	v_mov_b32_e32 v2, s11
	v_add_co_u32_e32 v12, vcc, s10, v0
	v_addc_co_u32_e32 v13, vcc, v2, v1, vcc
	v_mov_b32_e32 v2, s9
	v_add_co_u32_e32 v14, vcc, s8, v0
	v_addc_co_u32_e32 v15, vcc, v2, v1, vcc
	v_lshlrev_b64 v[0:1], 4, v[10:11]
	s_cmp_lg_u32 s13, 0
	v_mov_b32_e32 v2, s1
	v_add_co_u32_e32 v0, vcc, s0, v0
	s_cselect_b64 s[20:21], -1, 0
	s_cmp_lg_u32 s14, 0
	v_addc_co_u32_e32 v1, vcc, v2, v1, vcc
	s_cselect_b64 s[22:23], -1, 0
	s_cmp_lg_u32 s15, 0
	v_add_co_u32_e32 v16, vcc, 8, v0
	s_mov_b32 s10, 0
	s_cselect_b64 s[14:15], -1, 0
	v_addc_co_u32_e32 v17, vcc, 0, v1, vcc
	s_mov_b32 s11, 0x7ff00000
	s_mov_b64 s[8:9], 0
	s_branch .LBB84_10
.LBB84_4:                               ;   in Loop: Header=BB84_10 Depth=1
	s_or_b64 exec, exec, s[0:1]
	s_orn2_b64 s[44:45], s[2:3], exec
	s_orn2_b64 s[0:1], s[40:41], exec
.LBB84_5:                               ;   in Loop: Header=BB84_10 Depth=1
	s_or_b64 exec, exec, s[42:43]
	s_orn2_b64 s[2:3], s[44:45], exec
	s_orn2_b64 s[0:1], s[0:1], exec
.LBB84_6:                               ;   in Loop: Header=BB84_10 Depth=1
	s_or_b64 exec, exec, s[38:39]
	s_orn2_b64 s[38:39], s[2:3], exec
	s_orn2_b64 s[2:3], s[0:1], exec
.LBB84_7:                               ;   in Loop: Header=BB84_10 Depth=1
	s_or_b64 exec, exec, s[36:37]
	s_orn2_b64 s[36:37], s[38:39], exec
	s_orn2_b64 s[0:1], s[2:3], exec
.LBB84_8:                               ;   in Loop: Header=BB84_10 Depth=1
	s_or_b64 exec, exec, s[34:35]
	s_andn2_b64 s[2:3], s[28:29], exec
	s_and_b64 s[28:29], s[36:37], exec
	s_or_b64 s[28:29], s[2:3], s[28:29]
	s_andn2_b64 s[2:3], s[26:27], exec
	s_and_b64 s[0:1], s[0:1], exec
	s_or_b64 s[26:27], s[2:3], s[0:1]
.LBB84_9:                               ;   in Loop: Header=BB84_10 Depth=1
	s_or_b64 exec, exec, s[30:31]
	s_and_b64 s[0:1], exec, s[26:27]
	s_or_b64 s[8:9], s[0:1], s[8:9]
	s_andn2_b64 s[0:1], s[24:25], exec
	s_and_b64 s[2:3], s[28:29], exec
	s_or_b64 s[24:25], s[0:1], s[2:3]
	s_andn2_b64 exec, exec, s[8:9]
	s_cbranch_execz .LBB84_27
.LBB84_10:                              ; =>This Inner Loop Header: Depth=1
	global_load_dwordx2 v[18:19], v[14:15], off offset:8
	v_mov_b32_e32 v22, 4
	s_or_b64 s[28:29], s[28:29], exec
	s_or_b64 s[26:27], s[26:27], exec
	s_waitcnt vmcnt(0)
	v_subrev_co_u32_e32 v20, vcc, s12, v18
	v_subbrev_co_u32_e32 v21, vcc, 0, v19, vcc
	v_cmp_lt_i64_e32 vcc, -1, v[20:21]
	v_cmp_gt_i64_e64 s[0:1], s[18:19], v[20:21]
	s_and_b64 s[0:1], vcc, s[0:1]
	s_and_saveexec_b64 s[30:31], s[0:1]
	s_cbranch_execz .LBB84_9
; %bb.11:                               ;   in Loop: Header=BB84_10 Depth=1
	v_cmp_le_i64_e64 s[40:41], v[10:11], v[6:7]
	v_cmp_gt_i64_e32 vcc, v[10:11], v[6:7]
	v_mov_b32_e32 v22, 4
	s_mov_b64 s[2:3], s[40:41]
	s_and_saveexec_b64 s[34:35], vcc
	s_cbranch_execz .LBB84_13
; %bb.12:                               ;   in Loop: Header=BB84_10 Depth=1
	global_load_dwordx4 v[0:3], v[12:13], off
	s_waitcnt vmcnt(0)
	v_subrev_co_u32_e32 v22, vcc, s12, v0
	v_subbrev_co_u32_e32 v23, vcc, 0, v1, vcc
	v_cmp_lt_i64_e64 s[0:1], -1, v[22:23]
	v_cmp_gt_i64_e64 s[2:3], s[18:19], v[22:23]
	v_cmp_ne_u64_e32 vcc, v[2:3], v[0:1]
	s_and_b64 s[0:1], s[0:1], s[2:3]
	s_xor_b64 s[0:1], s[0:1], -1
	s_or_b64 s[0:1], vcc, s[0:1]
	s_andn2_b64 s[2:3], s[40:41], exec
	s_and_b64 s[0:1], s[0:1], exec
	v_mov_b32_e32 v22, 5
	s_or_b64 s[2:3], s[2:3], s[0:1]
.LBB84_13:                              ;   in Loop: Header=BB84_10 Depth=1
	s_or_b64 exec, exec, s[34:35]
	s_mov_b64 s[0:1], -1
	s_mov_b64 s[36:37], -1
	s_and_saveexec_b64 s[34:35], s[2:3]
	s_cbranch_execz .LBB84_8
; %bb.14:                               ;   in Loop: Header=BB84_10 Depth=1
	global_load_dwordx4 v[0:3], v[16:17], off offset:-8
	v_mov_b32_e32 v22, 1
	s_mov_b64 s[2:3], -1
	s_mov_b64 s[38:39], -1
	s_waitcnt vmcnt(0)
	v_cmp_neq_f64_e32 vcc, s[10:11], v[0:1]
	v_cmp_neq_f64_e64 s[0:1], s[10:11], v[2:3]
	s_and_b64 s[0:1], vcc, s[0:1]
	s_and_saveexec_b64 s[36:37], s[0:1]
	s_cbranch_execz .LBB84_7
; %bb.15:                               ;   in Loop: Header=BB84_10 Depth=1
	v_cmp_o_f64_e32 vcc, v[0:1], v[2:3]
	v_mov_b32_e32 v22, 2
	s_mov_b64 s[0:1], -1
	s_and_saveexec_b64 s[38:39], vcc
	s_cbranch_execz .LBB84_6
; %bb.16:                               ;   in Loop: Header=BB84_10 Depth=1
	s_and_b64 vcc, exec, s[20:21]
	s_cbranch_vccz .LBB84_19
; %bb.17:                               ;   in Loop: Header=BB84_10 Depth=1
	s_and_b64 vcc, exec, s[22:23]
	s_cbranch_vccz .LBB84_20
; %bb.18:                               ;   in Loop: Header=BB84_10 Depth=1
	v_cmp_ge_i64_e32 vcc, v[20:21], v[4:5]
	s_mov_b32 s13, 7
	s_and_b64 s[2:3], vcc, exec
	s_cbranch_execz .LBB84_21
	s_branch .LBB84_22
.LBB84_19:                              ;   in Loop: Header=BB84_10 Depth=1
	s_mov_b32 s13, 2
	s_branch .LBB84_22
.LBB84_20:                              ;   in Loop: Header=BB84_10 Depth=1
	s_mov_b64 s[2:3], 0
	s_mov_b32 s13, 2
.LBB84_21:                              ;   in Loop: Header=BB84_10 Depth=1
	v_cmp_le_i64_e32 vcc, v[20:21], v[4:5]
	s_andn2_b64 s[2:3], s[2:3], exec
	s_and_b64 s[42:43], vcc, exec
	s_mov_b32 s13, 7
	s_or_b64 s[2:3], s[2:3], s[42:43]
.LBB84_22:                              ;   in Loop: Header=BB84_10 Depth=1
	v_mov_b32_e32 v22, s13
	s_mov_b64 s[44:45], -1
	s_and_saveexec_b64 s[42:43], s[2:3]
	s_cbranch_execz .LBB84_5
; %bb.23:                               ;   in Loop: Header=BB84_10 Depth=1
	s_nor_b64 s[0:1], s[14:15], s[40:41]
	s_mov_b64 s[40:41], -1
	v_mov_b32_e32 v22, s13
	s_mov_b64 s[46:47], -1
	s_and_saveexec_b64 s[44:45], s[0:1]
	s_cbranch_execz .LBB84_25
; %bb.24:                               ;   in Loop: Header=BB84_10 Depth=1
	global_load_dwordx2 v[0:1], v[14:15], off
	v_mov_b32_e32 v22, 6
	s_waitcnt vmcnt(0)
	v_subrev_co_u32_e32 v2, vcc, s12, v0
	v_subbrev_co_u32_e32 v3, vcc, 0, v1, vcc
	v_cmp_lt_i64_e32 vcc, -1, v[2:3]
	v_cmp_gt_i64_e64 s[0:1], s[18:19], v[2:3]
	v_cmp_gt_i64_e64 s[2:3], v[18:19], v[0:1]
	s_and_b64 s[0:1], vcc, s[0:1]
	s_xor_b64 s[0:1], s[0:1], -1
	s_or_b64 s[0:1], s[2:3], s[0:1]
	s_orn2_b64 s[46:47], s[0:1], exec
.LBB84_25:                              ;   in Loop: Header=BB84_10 Depth=1
	s_or_b64 exec, exec, s[44:45]
	s_mov_b64 s[2:3], -1
	s_and_saveexec_b64 s[0:1], s[46:47]
	s_cbranch_execz .LBB84_4
; %bb.26:                               ;   in Loop: Header=BB84_10 Depth=1
	v_add_co_u32_e32 v10, vcc, 8, v10
	v_addc_co_u32_e32 v11, vcc, 0, v11, vcc
	v_add_co_u32_e32 v12, vcc, 64, v12
	v_addc_co_u32_e32 v13, vcc, 0, v13, vcc
	;; [unrolled: 2-line block ×4, first 2 shown]
	v_cmp_ge_i64_e32 vcc, v[10:11], v[8:9]
	s_xor_b64 s[2:3], exec, -1
	s_orn2_b64 s[40:41], vcc, exec
	s_branch .LBB84_4
.LBB84_27:
	s_or_b64 exec, exec, s[8:9]
	s_and_b64 s[8:9], s[24:25], exec
.LBB84_28:
	s_or_b64 exec, exec, s[16:17]
	s_orn2_b64 s[10:11], s[8:9], exec
.LBB84_29:
	s_or_b64 exec, exec, s[6:7]
	s_and_b64 exec, exec, s[10:11]
	s_cbranch_execz .LBB84_31
; %bb.30:
	s_load_dwordx2 s[0:1], s[4:5], 0x48
	v_mov_b32_e32 v0, 0
	s_waitcnt lgkmcnt(0)
	global_store_dword v0, v22, s[0:1]
.LBB84_31:
	s_endpgm
	.section	.rodata,"a",@progbits
	.p2align	6, 0x0
	.amdhsa_kernel _ZN9rocsparseL23check_matrix_csr_deviceILj256ELj8E21rocsparse_complex_numIdEllEEvT3_S3_T2_PKT1_PKS4_PKS3_SB_21rocsparse_index_base_22rocsparse_matrix_type_20rocsparse_fill_mode_23rocsparse_storage_mode_P22rocsparse_data_status_
		.amdhsa_group_segment_fixed_size 0
		.amdhsa_private_segment_fixed_size 0
		.amdhsa_kernarg_size 80
		.amdhsa_user_sgpr_count 6
		.amdhsa_user_sgpr_private_segment_buffer 1
		.amdhsa_user_sgpr_dispatch_ptr 0
		.amdhsa_user_sgpr_queue_ptr 0
		.amdhsa_user_sgpr_kernarg_segment_ptr 1
		.amdhsa_user_sgpr_dispatch_id 0
		.amdhsa_user_sgpr_flat_scratch_init 0
		.amdhsa_user_sgpr_private_segment_size 0
		.amdhsa_uses_dynamic_stack 0
		.amdhsa_system_sgpr_private_segment_wavefront_offset 0
		.amdhsa_system_sgpr_workgroup_id_x 1
		.amdhsa_system_sgpr_workgroup_id_y 0
		.amdhsa_system_sgpr_workgroup_id_z 0
		.amdhsa_system_sgpr_workgroup_info 0
		.amdhsa_system_vgpr_workitem_id 0
		.amdhsa_next_free_vgpr 24
		.amdhsa_next_free_sgpr 48
		.amdhsa_reserve_vcc 1
		.amdhsa_reserve_flat_scratch 0
		.amdhsa_float_round_mode_32 0
		.amdhsa_float_round_mode_16_64 0
		.amdhsa_float_denorm_mode_32 3
		.amdhsa_float_denorm_mode_16_64 3
		.amdhsa_dx10_clamp 1
		.amdhsa_ieee_mode 1
		.amdhsa_fp16_overflow 0
		.amdhsa_exception_fp_ieee_invalid_op 0
		.amdhsa_exception_fp_denorm_src 0
		.amdhsa_exception_fp_ieee_div_zero 0
		.amdhsa_exception_fp_ieee_overflow 0
		.amdhsa_exception_fp_ieee_underflow 0
		.amdhsa_exception_fp_ieee_inexact 0
		.amdhsa_exception_int_div_zero 0
	.end_amdhsa_kernel
	.section	.text._ZN9rocsparseL23check_matrix_csr_deviceILj256ELj8E21rocsparse_complex_numIdEllEEvT3_S3_T2_PKT1_PKS4_PKS3_SB_21rocsparse_index_base_22rocsparse_matrix_type_20rocsparse_fill_mode_23rocsparse_storage_mode_P22rocsparse_data_status_,"axG",@progbits,_ZN9rocsparseL23check_matrix_csr_deviceILj256ELj8E21rocsparse_complex_numIdEllEEvT3_S3_T2_PKT1_PKS4_PKS3_SB_21rocsparse_index_base_22rocsparse_matrix_type_20rocsparse_fill_mode_23rocsparse_storage_mode_P22rocsparse_data_status_,comdat
.Lfunc_end84:
	.size	_ZN9rocsparseL23check_matrix_csr_deviceILj256ELj8E21rocsparse_complex_numIdEllEEvT3_S3_T2_PKT1_PKS4_PKS3_SB_21rocsparse_index_base_22rocsparse_matrix_type_20rocsparse_fill_mode_23rocsparse_storage_mode_P22rocsparse_data_status_, .Lfunc_end84-_ZN9rocsparseL23check_matrix_csr_deviceILj256ELj8E21rocsparse_complex_numIdEllEEvT3_S3_T2_PKT1_PKS4_PKS3_SB_21rocsparse_index_base_22rocsparse_matrix_type_20rocsparse_fill_mode_23rocsparse_storage_mode_P22rocsparse_data_status_
                                        ; -- End function
	.set _ZN9rocsparseL23check_matrix_csr_deviceILj256ELj8E21rocsparse_complex_numIdEllEEvT3_S3_T2_PKT1_PKS4_PKS3_SB_21rocsparse_index_base_22rocsparse_matrix_type_20rocsparse_fill_mode_23rocsparse_storage_mode_P22rocsparse_data_status_.num_vgpr, 24
	.set _ZN9rocsparseL23check_matrix_csr_deviceILj256ELj8E21rocsparse_complex_numIdEllEEvT3_S3_T2_PKT1_PKS4_PKS3_SB_21rocsparse_index_base_22rocsparse_matrix_type_20rocsparse_fill_mode_23rocsparse_storage_mode_P22rocsparse_data_status_.num_agpr, 0
	.set _ZN9rocsparseL23check_matrix_csr_deviceILj256ELj8E21rocsparse_complex_numIdEllEEvT3_S3_T2_PKT1_PKS4_PKS3_SB_21rocsparse_index_base_22rocsparse_matrix_type_20rocsparse_fill_mode_23rocsparse_storage_mode_P22rocsparse_data_status_.numbered_sgpr, 48
	.set _ZN9rocsparseL23check_matrix_csr_deviceILj256ELj8E21rocsparse_complex_numIdEllEEvT3_S3_T2_PKT1_PKS4_PKS3_SB_21rocsparse_index_base_22rocsparse_matrix_type_20rocsparse_fill_mode_23rocsparse_storage_mode_P22rocsparse_data_status_.num_named_barrier, 0
	.set _ZN9rocsparseL23check_matrix_csr_deviceILj256ELj8E21rocsparse_complex_numIdEllEEvT3_S3_T2_PKT1_PKS4_PKS3_SB_21rocsparse_index_base_22rocsparse_matrix_type_20rocsparse_fill_mode_23rocsparse_storage_mode_P22rocsparse_data_status_.private_seg_size, 0
	.set _ZN9rocsparseL23check_matrix_csr_deviceILj256ELj8E21rocsparse_complex_numIdEllEEvT3_S3_T2_PKT1_PKS4_PKS3_SB_21rocsparse_index_base_22rocsparse_matrix_type_20rocsparse_fill_mode_23rocsparse_storage_mode_P22rocsparse_data_status_.uses_vcc, 1
	.set _ZN9rocsparseL23check_matrix_csr_deviceILj256ELj8E21rocsparse_complex_numIdEllEEvT3_S3_T2_PKT1_PKS4_PKS3_SB_21rocsparse_index_base_22rocsparse_matrix_type_20rocsparse_fill_mode_23rocsparse_storage_mode_P22rocsparse_data_status_.uses_flat_scratch, 0
	.set _ZN9rocsparseL23check_matrix_csr_deviceILj256ELj8E21rocsparse_complex_numIdEllEEvT3_S3_T2_PKT1_PKS4_PKS3_SB_21rocsparse_index_base_22rocsparse_matrix_type_20rocsparse_fill_mode_23rocsparse_storage_mode_P22rocsparse_data_status_.has_dyn_sized_stack, 0
	.set _ZN9rocsparseL23check_matrix_csr_deviceILj256ELj8E21rocsparse_complex_numIdEllEEvT3_S3_T2_PKT1_PKS4_PKS3_SB_21rocsparse_index_base_22rocsparse_matrix_type_20rocsparse_fill_mode_23rocsparse_storage_mode_P22rocsparse_data_status_.has_recursion, 0
	.set _ZN9rocsparseL23check_matrix_csr_deviceILj256ELj8E21rocsparse_complex_numIdEllEEvT3_S3_T2_PKT1_PKS4_PKS3_SB_21rocsparse_index_base_22rocsparse_matrix_type_20rocsparse_fill_mode_23rocsparse_storage_mode_P22rocsparse_data_status_.has_indirect_call, 0
	.section	.AMDGPU.csdata,"",@progbits
; Kernel info:
; codeLenInByte = 956
; TotalNumSgprs: 52
; NumVgprs: 24
; ScratchSize: 0
; MemoryBound: 0
; FloatMode: 240
; IeeeMode: 1
; LDSByteSize: 0 bytes/workgroup (compile time only)
; SGPRBlocks: 6
; VGPRBlocks: 5
; NumSGPRsForWavesPerEU: 52
; NumVGPRsForWavesPerEU: 24
; Occupancy: 10
; WaveLimiterHint : 0
; COMPUTE_PGM_RSRC2:SCRATCH_EN: 0
; COMPUTE_PGM_RSRC2:USER_SGPR: 6
; COMPUTE_PGM_RSRC2:TRAP_HANDLER: 0
; COMPUTE_PGM_RSRC2:TGID_X_EN: 1
; COMPUTE_PGM_RSRC2:TGID_Y_EN: 0
; COMPUTE_PGM_RSRC2:TGID_Z_EN: 0
; COMPUTE_PGM_RSRC2:TIDIG_COMP_CNT: 0
	.section	.text._ZN9rocsparseL23check_matrix_csr_deviceILj256ELj16E21rocsparse_complex_numIdEllEEvT3_S3_T2_PKT1_PKS4_PKS3_SB_21rocsparse_index_base_22rocsparse_matrix_type_20rocsparse_fill_mode_23rocsparse_storage_mode_P22rocsparse_data_status_,"axG",@progbits,_ZN9rocsparseL23check_matrix_csr_deviceILj256ELj16E21rocsparse_complex_numIdEllEEvT3_S3_T2_PKT1_PKS4_PKS3_SB_21rocsparse_index_base_22rocsparse_matrix_type_20rocsparse_fill_mode_23rocsparse_storage_mode_P22rocsparse_data_status_,comdat
	.globl	_ZN9rocsparseL23check_matrix_csr_deviceILj256ELj16E21rocsparse_complex_numIdEllEEvT3_S3_T2_PKT1_PKS4_PKS3_SB_21rocsparse_index_base_22rocsparse_matrix_type_20rocsparse_fill_mode_23rocsparse_storage_mode_P22rocsparse_data_status_ ; -- Begin function _ZN9rocsparseL23check_matrix_csr_deviceILj256ELj16E21rocsparse_complex_numIdEllEEvT3_S3_T2_PKT1_PKS4_PKS3_SB_21rocsparse_index_base_22rocsparse_matrix_type_20rocsparse_fill_mode_23rocsparse_storage_mode_P22rocsparse_data_status_
	.p2align	8
	.type	_ZN9rocsparseL23check_matrix_csr_deviceILj256ELj16E21rocsparse_complex_numIdEllEEvT3_S3_T2_PKT1_PKS4_PKS3_SB_21rocsparse_index_base_22rocsparse_matrix_type_20rocsparse_fill_mode_23rocsparse_storage_mode_P22rocsparse_data_status_,@function
_ZN9rocsparseL23check_matrix_csr_deviceILj256ELj16E21rocsparse_complex_numIdEllEEvT3_S3_T2_PKT1_PKS4_PKS3_SB_21rocsparse_index_base_22rocsparse_matrix_type_20rocsparse_fill_mode_23rocsparse_storage_mode_P22rocsparse_data_status_: ; @_ZN9rocsparseL23check_matrix_csr_deviceILj256ELj16E21rocsparse_complex_numIdEllEEvT3_S3_T2_PKT1_PKS4_PKS3_SB_21rocsparse_index_base_22rocsparse_matrix_type_20rocsparse_fill_mode_23rocsparse_storage_mode_P22rocsparse_data_status_
; %bb.0:
	s_load_dwordx4 s[16:19], s[4:5], 0x0
	v_lshl_or_b32 v1, s6, 8, v0
	v_lshrrev_b32_e32 v4, 4, v1
	v_mov_b32_e32 v5, 0
	s_waitcnt lgkmcnt(0)
	v_cmp_gt_i64_e32 vcc, s[16:17], v[4:5]
	s_and_saveexec_b64 s[0:1], vcc
	s_cbranch_execz .LBB85_31
; %bb.1:
	s_load_dwordx2 s[0:1], s[4:5], 0x20
	v_lshlrev_b32_e32 v1, 3, v4
	v_mov_b32_e32 v22, 3
	s_mov_b64 s[10:11], -1
	s_mov_b64 s[8:9], 0
	s_waitcnt lgkmcnt(0)
	global_load_dwordx4 v[10:13], v1, s[0:1]
	s_load_dwordx2 s[0:1], s[0:1], 0x0
	s_waitcnt lgkmcnt(0)
	v_mov_b32_e32 v1, s1
	s_waitcnt vmcnt(0)
	v_subrev_co_u32_e32 v6, vcc, s0, v10
	v_subb_co_u32_e32 v7, vcc, v11, v1, vcc
	v_subrev_co_u32_e32 v8, vcc, s0, v12
	v_subb_co_u32_e32 v9, vcc, v13, v1, vcc
	v_cmp_gt_i64_e64 s[0:1], 0, v[8:9]
	v_cmp_lt_i64_e64 s[2:3], v[12:13], v[10:11]
	v_cmp_lt_i64_e32 vcc, -1, v[6:7]
	s_or_b64 s[0:1], s[0:1], s[2:3]
	s_xor_b64 s[0:1], s[0:1], -1
	s_and_b64 s[0:1], vcc, s[0:1]
	s_and_saveexec_b64 s[6:7], s[0:1]
	s_cbranch_execz .LBB85_29
; %bb.2:
	v_and_b32_e32 v0, 15, v0
	v_add_co_u32_e32 v10, vcc, v6, v0
	v_addc_co_u32_e32 v11, vcc, 0, v7, vcc
	v_cmp_lt_u64_e32 vcc, v[10:11], v[8:9]
	v_mov_b32_e32 v22, 3
	s_and_saveexec_b64 s[16:17], vcc
	s_cbranch_execz .LBB85_28
; %bb.3:
	s_load_dwordx8 s[8:15], s[4:5], 0x28
	s_load_dwordx2 s[0:1], s[4:5], 0x18
	v_lshlrev_b64 v[0:1], 3, v[10:11]
                                        ; implicit-def: $sgpr24_sgpr25
                                        ; implicit-def: $sgpr26_sgpr27
                                        ; implicit-def: $sgpr28_sgpr29
	v_add_co_u32_e32 v0, vcc, -8, v0
	v_addc_co_u32_e32 v1, vcc, -1, v1, vcc
	s_waitcnt lgkmcnt(0)
	v_mov_b32_e32 v2, s11
	v_add_co_u32_e32 v12, vcc, s10, v0
	v_addc_co_u32_e32 v13, vcc, v2, v1, vcc
	v_mov_b32_e32 v2, s9
	v_add_co_u32_e32 v14, vcc, s8, v0
	v_addc_co_u32_e32 v15, vcc, v2, v1, vcc
	v_lshlrev_b64 v[0:1], 4, v[10:11]
	s_cmp_lg_u32 s13, 0
	v_mov_b32_e32 v2, s1
	v_add_co_u32_e32 v0, vcc, s0, v0
	s_cselect_b64 s[20:21], -1, 0
	s_cmp_lg_u32 s14, 0
	v_addc_co_u32_e32 v1, vcc, v2, v1, vcc
	s_cselect_b64 s[22:23], -1, 0
	s_cmp_lg_u32 s15, 0
	v_add_co_u32_e32 v16, vcc, 8, v0
	s_mov_b32 s10, 0
	s_cselect_b64 s[14:15], -1, 0
	v_addc_co_u32_e32 v17, vcc, 0, v1, vcc
	s_mov_b32 s11, 0x7ff00000
	s_mov_b64 s[8:9], 0
	s_branch .LBB85_10
.LBB85_4:                               ;   in Loop: Header=BB85_10 Depth=1
	s_or_b64 exec, exec, s[0:1]
	s_orn2_b64 s[44:45], s[2:3], exec
	s_orn2_b64 s[0:1], s[40:41], exec
.LBB85_5:                               ;   in Loop: Header=BB85_10 Depth=1
	s_or_b64 exec, exec, s[42:43]
	s_orn2_b64 s[2:3], s[44:45], exec
	s_orn2_b64 s[0:1], s[0:1], exec
.LBB85_6:                               ;   in Loop: Header=BB85_10 Depth=1
	s_or_b64 exec, exec, s[38:39]
	s_orn2_b64 s[38:39], s[2:3], exec
	s_orn2_b64 s[2:3], s[0:1], exec
.LBB85_7:                               ;   in Loop: Header=BB85_10 Depth=1
	s_or_b64 exec, exec, s[36:37]
	s_orn2_b64 s[36:37], s[38:39], exec
	s_orn2_b64 s[0:1], s[2:3], exec
.LBB85_8:                               ;   in Loop: Header=BB85_10 Depth=1
	s_or_b64 exec, exec, s[34:35]
	s_andn2_b64 s[2:3], s[28:29], exec
	s_and_b64 s[28:29], s[36:37], exec
	s_or_b64 s[28:29], s[2:3], s[28:29]
	s_andn2_b64 s[2:3], s[26:27], exec
	s_and_b64 s[0:1], s[0:1], exec
	s_or_b64 s[26:27], s[2:3], s[0:1]
.LBB85_9:                               ;   in Loop: Header=BB85_10 Depth=1
	s_or_b64 exec, exec, s[30:31]
	s_and_b64 s[0:1], exec, s[26:27]
	s_or_b64 s[8:9], s[0:1], s[8:9]
	s_andn2_b64 s[0:1], s[24:25], exec
	s_and_b64 s[2:3], s[28:29], exec
	s_or_b64 s[24:25], s[0:1], s[2:3]
	s_andn2_b64 exec, exec, s[8:9]
	s_cbranch_execz .LBB85_27
.LBB85_10:                              ; =>This Inner Loop Header: Depth=1
	global_load_dwordx2 v[18:19], v[14:15], off offset:8
	v_mov_b32_e32 v22, 4
	s_or_b64 s[28:29], s[28:29], exec
	s_or_b64 s[26:27], s[26:27], exec
	s_waitcnt vmcnt(0)
	v_subrev_co_u32_e32 v20, vcc, s12, v18
	v_subbrev_co_u32_e32 v21, vcc, 0, v19, vcc
	v_cmp_lt_i64_e32 vcc, -1, v[20:21]
	v_cmp_gt_i64_e64 s[0:1], s[18:19], v[20:21]
	s_and_b64 s[0:1], vcc, s[0:1]
	s_and_saveexec_b64 s[30:31], s[0:1]
	s_cbranch_execz .LBB85_9
; %bb.11:                               ;   in Loop: Header=BB85_10 Depth=1
	v_cmp_le_i64_e64 s[40:41], v[10:11], v[6:7]
	v_cmp_gt_i64_e32 vcc, v[10:11], v[6:7]
	v_mov_b32_e32 v22, 4
	s_mov_b64 s[2:3], s[40:41]
	s_and_saveexec_b64 s[34:35], vcc
	s_cbranch_execz .LBB85_13
; %bb.12:                               ;   in Loop: Header=BB85_10 Depth=1
	global_load_dwordx4 v[0:3], v[12:13], off
	s_waitcnt vmcnt(0)
	v_subrev_co_u32_e32 v22, vcc, s12, v0
	v_subbrev_co_u32_e32 v23, vcc, 0, v1, vcc
	v_cmp_lt_i64_e64 s[0:1], -1, v[22:23]
	v_cmp_gt_i64_e64 s[2:3], s[18:19], v[22:23]
	v_cmp_ne_u64_e32 vcc, v[2:3], v[0:1]
	s_and_b64 s[0:1], s[0:1], s[2:3]
	s_xor_b64 s[0:1], s[0:1], -1
	s_or_b64 s[0:1], vcc, s[0:1]
	s_andn2_b64 s[2:3], s[40:41], exec
	s_and_b64 s[0:1], s[0:1], exec
	v_mov_b32_e32 v22, 5
	s_or_b64 s[2:3], s[2:3], s[0:1]
.LBB85_13:                              ;   in Loop: Header=BB85_10 Depth=1
	s_or_b64 exec, exec, s[34:35]
	s_mov_b64 s[0:1], -1
	s_mov_b64 s[36:37], -1
	s_and_saveexec_b64 s[34:35], s[2:3]
	s_cbranch_execz .LBB85_8
; %bb.14:                               ;   in Loop: Header=BB85_10 Depth=1
	global_load_dwordx4 v[0:3], v[16:17], off offset:-8
	v_mov_b32_e32 v22, 1
	s_mov_b64 s[2:3], -1
	s_mov_b64 s[38:39], -1
	s_waitcnt vmcnt(0)
	v_cmp_neq_f64_e32 vcc, s[10:11], v[0:1]
	v_cmp_neq_f64_e64 s[0:1], s[10:11], v[2:3]
	s_and_b64 s[0:1], vcc, s[0:1]
	s_and_saveexec_b64 s[36:37], s[0:1]
	s_cbranch_execz .LBB85_7
; %bb.15:                               ;   in Loop: Header=BB85_10 Depth=1
	v_cmp_o_f64_e32 vcc, v[0:1], v[2:3]
	v_mov_b32_e32 v22, 2
	s_mov_b64 s[0:1], -1
	s_and_saveexec_b64 s[38:39], vcc
	s_cbranch_execz .LBB85_6
; %bb.16:                               ;   in Loop: Header=BB85_10 Depth=1
	s_and_b64 vcc, exec, s[20:21]
	s_cbranch_vccz .LBB85_19
; %bb.17:                               ;   in Loop: Header=BB85_10 Depth=1
	s_and_b64 vcc, exec, s[22:23]
	s_cbranch_vccz .LBB85_20
; %bb.18:                               ;   in Loop: Header=BB85_10 Depth=1
	v_cmp_ge_i64_e32 vcc, v[20:21], v[4:5]
	s_mov_b32 s13, 7
	s_and_b64 s[2:3], vcc, exec
	s_cbranch_execz .LBB85_21
	s_branch .LBB85_22
.LBB85_19:                              ;   in Loop: Header=BB85_10 Depth=1
	s_mov_b32 s13, 2
	s_branch .LBB85_22
.LBB85_20:                              ;   in Loop: Header=BB85_10 Depth=1
	s_mov_b64 s[2:3], 0
	s_mov_b32 s13, 2
.LBB85_21:                              ;   in Loop: Header=BB85_10 Depth=1
	v_cmp_le_i64_e32 vcc, v[20:21], v[4:5]
	s_andn2_b64 s[2:3], s[2:3], exec
	s_and_b64 s[42:43], vcc, exec
	s_mov_b32 s13, 7
	s_or_b64 s[2:3], s[2:3], s[42:43]
.LBB85_22:                              ;   in Loop: Header=BB85_10 Depth=1
	v_mov_b32_e32 v22, s13
	s_mov_b64 s[44:45], -1
	s_and_saveexec_b64 s[42:43], s[2:3]
	s_cbranch_execz .LBB85_5
; %bb.23:                               ;   in Loop: Header=BB85_10 Depth=1
	s_nor_b64 s[0:1], s[14:15], s[40:41]
	s_mov_b64 s[40:41], -1
	v_mov_b32_e32 v22, s13
	s_mov_b64 s[46:47], -1
	s_and_saveexec_b64 s[44:45], s[0:1]
	s_cbranch_execz .LBB85_25
; %bb.24:                               ;   in Loop: Header=BB85_10 Depth=1
	global_load_dwordx2 v[0:1], v[14:15], off
	v_mov_b32_e32 v22, 6
	s_waitcnt vmcnt(0)
	v_subrev_co_u32_e32 v2, vcc, s12, v0
	v_subbrev_co_u32_e32 v3, vcc, 0, v1, vcc
	v_cmp_lt_i64_e32 vcc, -1, v[2:3]
	v_cmp_gt_i64_e64 s[0:1], s[18:19], v[2:3]
	v_cmp_gt_i64_e64 s[2:3], v[18:19], v[0:1]
	s_and_b64 s[0:1], vcc, s[0:1]
	s_xor_b64 s[0:1], s[0:1], -1
	s_or_b64 s[0:1], s[2:3], s[0:1]
	s_orn2_b64 s[46:47], s[0:1], exec
.LBB85_25:                              ;   in Loop: Header=BB85_10 Depth=1
	s_or_b64 exec, exec, s[44:45]
	s_mov_b64 s[2:3], -1
	s_and_saveexec_b64 s[0:1], s[46:47]
	s_cbranch_execz .LBB85_4
; %bb.26:                               ;   in Loop: Header=BB85_10 Depth=1
	v_add_co_u32_e32 v10, vcc, 16, v10
	v_addc_co_u32_e32 v11, vcc, 0, v11, vcc
	v_add_co_u32_e32 v12, vcc, 0x80, v12
	v_addc_co_u32_e32 v13, vcc, 0, v13, vcc
	;; [unrolled: 2-line block ×4, first 2 shown]
	v_cmp_ge_i64_e32 vcc, v[10:11], v[8:9]
	s_xor_b64 s[2:3], exec, -1
	s_orn2_b64 s[40:41], vcc, exec
	s_branch .LBB85_4
.LBB85_27:
	s_or_b64 exec, exec, s[8:9]
	s_and_b64 s[8:9], s[24:25], exec
.LBB85_28:
	s_or_b64 exec, exec, s[16:17]
	s_orn2_b64 s[10:11], s[8:9], exec
.LBB85_29:
	s_or_b64 exec, exec, s[6:7]
	s_and_b64 exec, exec, s[10:11]
	s_cbranch_execz .LBB85_31
; %bb.30:
	s_load_dwordx2 s[0:1], s[4:5], 0x48
	v_mov_b32_e32 v0, 0
	s_waitcnt lgkmcnt(0)
	global_store_dword v0, v22, s[0:1]
.LBB85_31:
	s_endpgm
	.section	.rodata,"a",@progbits
	.p2align	6, 0x0
	.amdhsa_kernel _ZN9rocsparseL23check_matrix_csr_deviceILj256ELj16E21rocsparse_complex_numIdEllEEvT3_S3_T2_PKT1_PKS4_PKS3_SB_21rocsparse_index_base_22rocsparse_matrix_type_20rocsparse_fill_mode_23rocsparse_storage_mode_P22rocsparse_data_status_
		.amdhsa_group_segment_fixed_size 0
		.amdhsa_private_segment_fixed_size 0
		.amdhsa_kernarg_size 80
		.amdhsa_user_sgpr_count 6
		.amdhsa_user_sgpr_private_segment_buffer 1
		.amdhsa_user_sgpr_dispatch_ptr 0
		.amdhsa_user_sgpr_queue_ptr 0
		.amdhsa_user_sgpr_kernarg_segment_ptr 1
		.amdhsa_user_sgpr_dispatch_id 0
		.amdhsa_user_sgpr_flat_scratch_init 0
		.amdhsa_user_sgpr_private_segment_size 0
		.amdhsa_uses_dynamic_stack 0
		.amdhsa_system_sgpr_private_segment_wavefront_offset 0
		.amdhsa_system_sgpr_workgroup_id_x 1
		.amdhsa_system_sgpr_workgroup_id_y 0
		.amdhsa_system_sgpr_workgroup_id_z 0
		.amdhsa_system_sgpr_workgroup_info 0
		.amdhsa_system_vgpr_workitem_id 0
		.amdhsa_next_free_vgpr 24
		.amdhsa_next_free_sgpr 48
		.amdhsa_reserve_vcc 1
		.amdhsa_reserve_flat_scratch 0
		.amdhsa_float_round_mode_32 0
		.amdhsa_float_round_mode_16_64 0
		.amdhsa_float_denorm_mode_32 3
		.amdhsa_float_denorm_mode_16_64 3
		.amdhsa_dx10_clamp 1
		.amdhsa_ieee_mode 1
		.amdhsa_fp16_overflow 0
		.amdhsa_exception_fp_ieee_invalid_op 0
		.amdhsa_exception_fp_denorm_src 0
		.amdhsa_exception_fp_ieee_div_zero 0
		.amdhsa_exception_fp_ieee_overflow 0
		.amdhsa_exception_fp_ieee_underflow 0
		.amdhsa_exception_fp_ieee_inexact 0
		.amdhsa_exception_int_div_zero 0
	.end_amdhsa_kernel
	.section	.text._ZN9rocsparseL23check_matrix_csr_deviceILj256ELj16E21rocsparse_complex_numIdEllEEvT3_S3_T2_PKT1_PKS4_PKS3_SB_21rocsparse_index_base_22rocsparse_matrix_type_20rocsparse_fill_mode_23rocsparse_storage_mode_P22rocsparse_data_status_,"axG",@progbits,_ZN9rocsparseL23check_matrix_csr_deviceILj256ELj16E21rocsparse_complex_numIdEllEEvT3_S3_T2_PKT1_PKS4_PKS3_SB_21rocsparse_index_base_22rocsparse_matrix_type_20rocsparse_fill_mode_23rocsparse_storage_mode_P22rocsparse_data_status_,comdat
.Lfunc_end85:
	.size	_ZN9rocsparseL23check_matrix_csr_deviceILj256ELj16E21rocsparse_complex_numIdEllEEvT3_S3_T2_PKT1_PKS4_PKS3_SB_21rocsparse_index_base_22rocsparse_matrix_type_20rocsparse_fill_mode_23rocsparse_storage_mode_P22rocsparse_data_status_, .Lfunc_end85-_ZN9rocsparseL23check_matrix_csr_deviceILj256ELj16E21rocsparse_complex_numIdEllEEvT3_S3_T2_PKT1_PKS4_PKS3_SB_21rocsparse_index_base_22rocsparse_matrix_type_20rocsparse_fill_mode_23rocsparse_storage_mode_P22rocsparse_data_status_
                                        ; -- End function
	.set _ZN9rocsparseL23check_matrix_csr_deviceILj256ELj16E21rocsparse_complex_numIdEllEEvT3_S3_T2_PKT1_PKS4_PKS3_SB_21rocsparse_index_base_22rocsparse_matrix_type_20rocsparse_fill_mode_23rocsparse_storage_mode_P22rocsparse_data_status_.num_vgpr, 24
	.set _ZN9rocsparseL23check_matrix_csr_deviceILj256ELj16E21rocsparse_complex_numIdEllEEvT3_S3_T2_PKT1_PKS4_PKS3_SB_21rocsparse_index_base_22rocsparse_matrix_type_20rocsparse_fill_mode_23rocsparse_storage_mode_P22rocsparse_data_status_.num_agpr, 0
	.set _ZN9rocsparseL23check_matrix_csr_deviceILj256ELj16E21rocsparse_complex_numIdEllEEvT3_S3_T2_PKT1_PKS4_PKS3_SB_21rocsparse_index_base_22rocsparse_matrix_type_20rocsparse_fill_mode_23rocsparse_storage_mode_P22rocsparse_data_status_.numbered_sgpr, 48
	.set _ZN9rocsparseL23check_matrix_csr_deviceILj256ELj16E21rocsparse_complex_numIdEllEEvT3_S3_T2_PKT1_PKS4_PKS3_SB_21rocsparse_index_base_22rocsparse_matrix_type_20rocsparse_fill_mode_23rocsparse_storage_mode_P22rocsparse_data_status_.num_named_barrier, 0
	.set _ZN9rocsparseL23check_matrix_csr_deviceILj256ELj16E21rocsparse_complex_numIdEllEEvT3_S3_T2_PKT1_PKS4_PKS3_SB_21rocsparse_index_base_22rocsparse_matrix_type_20rocsparse_fill_mode_23rocsparse_storage_mode_P22rocsparse_data_status_.private_seg_size, 0
	.set _ZN9rocsparseL23check_matrix_csr_deviceILj256ELj16E21rocsparse_complex_numIdEllEEvT3_S3_T2_PKT1_PKS4_PKS3_SB_21rocsparse_index_base_22rocsparse_matrix_type_20rocsparse_fill_mode_23rocsparse_storage_mode_P22rocsparse_data_status_.uses_vcc, 1
	.set _ZN9rocsparseL23check_matrix_csr_deviceILj256ELj16E21rocsparse_complex_numIdEllEEvT3_S3_T2_PKT1_PKS4_PKS3_SB_21rocsparse_index_base_22rocsparse_matrix_type_20rocsparse_fill_mode_23rocsparse_storage_mode_P22rocsparse_data_status_.uses_flat_scratch, 0
	.set _ZN9rocsparseL23check_matrix_csr_deviceILj256ELj16E21rocsparse_complex_numIdEllEEvT3_S3_T2_PKT1_PKS4_PKS3_SB_21rocsparse_index_base_22rocsparse_matrix_type_20rocsparse_fill_mode_23rocsparse_storage_mode_P22rocsparse_data_status_.has_dyn_sized_stack, 0
	.set _ZN9rocsparseL23check_matrix_csr_deviceILj256ELj16E21rocsparse_complex_numIdEllEEvT3_S3_T2_PKT1_PKS4_PKS3_SB_21rocsparse_index_base_22rocsparse_matrix_type_20rocsparse_fill_mode_23rocsparse_storage_mode_P22rocsparse_data_status_.has_recursion, 0
	.set _ZN9rocsparseL23check_matrix_csr_deviceILj256ELj16E21rocsparse_complex_numIdEllEEvT3_S3_T2_PKT1_PKS4_PKS3_SB_21rocsparse_index_base_22rocsparse_matrix_type_20rocsparse_fill_mode_23rocsparse_storage_mode_P22rocsparse_data_status_.has_indirect_call, 0
	.section	.AMDGPU.csdata,"",@progbits
; Kernel info:
; codeLenInByte = 964
; TotalNumSgprs: 52
; NumVgprs: 24
; ScratchSize: 0
; MemoryBound: 0
; FloatMode: 240
; IeeeMode: 1
; LDSByteSize: 0 bytes/workgroup (compile time only)
; SGPRBlocks: 6
; VGPRBlocks: 5
; NumSGPRsForWavesPerEU: 52
; NumVGPRsForWavesPerEU: 24
; Occupancy: 10
; WaveLimiterHint : 0
; COMPUTE_PGM_RSRC2:SCRATCH_EN: 0
; COMPUTE_PGM_RSRC2:USER_SGPR: 6
; COMPUTE_PGM_RSRC2:TRAP_HANDLER: 0
; COMPUTE_PGM_RSRC2:TGID_X_EN: 1
; COMPUTE_PGM_RSRC2:TGID_Y_EN: 0
; COMPUTE_PGM_RSRC2:TGID_Z_EN: 0
; COMPUTE_PGM_RSRC2:TIDIG_COMP_CNT: 0
	.section	.text._ZN9rocsparseL23check_matrix_csr_deviceILj256ELj32E21rocsparse_complex_numIdEllEEvT3_S3_T2_PKT1_PKS4_PKS3_SB_21rocsparse_index_base_22rocsparse_matrix_type_20rocsparse_fill_mode_23rocsparse_storage_mode_P22rocsparse_data_status_,"axG",@progbits,_ZN9rocsparseL23check_matrix_csr_deviceILj256ELj32E21rocsparse_complex_numIdEllEEvT3_S3_T2_PKT1_PKS4_PKS3_SB_21rocsparse_index_base_22rocsparse_matrix_type_20rocsparse_fill_mode_23rocsparse_storage_mode_P22rocsparse_data_status_,comdat
	.globl	_ZN9rocsparseL23check_matrix_csr_deviceILj256ELj32E21rocsparse_complex_numIdEllEEvT3_S3_T2_PKT1_PKS4_PKS3_SB_21rocsparse_index_base_22rocsparse_matrix_type_20rocsparse_fill_mode_23rocsparse_storage_mode_P22rocsparse_data_status_ ; -- Begin function _ZN9rocsparseL23check_matrix_csr_deviceILj256ELj32E21rocsparse_complex_numIdEllEEvT3_S3_T2_PKT1_PKS4_PKS3_SB_21rocsparse_index_base_22rocsparse_matrix_type_20rocsparse_fill_mode_23rocsparse_storage_mode_P22rocsparse_data_status_
	.p2align	8
	.type	_ZN9rocsparseL23check_matrix_csr_deviceILj256ELj32E21rocsparse_complex_numIdEllEEvT3_S3_T2_PKT1_PKS4_PKS3_SB_21rocsparse_index_base_22rocsparse_matrix_type_20rocsparse_fill_mode_23rocsparse_storage_mode_P22rocsparse_data_status_,@function
_ZN9rocsparseL23check_matrix_csr_deviceILj256ELj32E21rocsparse_complex_numIdEllEEvT3_S3_T2_PKT1_PKS4_PKS3_SB_21rocsparse_index_base_22rocsparse_matrix_type_20rocsparse_fill_mode_23rocsparse_storage_mode_P22rocsparse_data_status_: ; @_ZN9rocsparseL23check_matrix_csr_deviceILj256ELj32E21rocsparse_complex_numIdEllEEvT3_S3_T2_PKT1_PKS4_PKS3_SB_21rocsparse_index_base_22rocsparse_matrix_type_20rocsparse_fill_mode_23rocsparse_storage_mode_P22rocsparse_data_status_
; %bb.0:
	s_load_dwordx4 s[16:19], s[4:5], 0x0
	v_lshl_or_b32 v1, s6, 8, v0
	v_lshrrev_b32_e32 v4, 5, v1
	v_mov_b32_e32 v5, 0
	s_waitcnt lgkmcnt(0)
	v_cmp_gt_i64_e32 vcc, s[16:17], v[4:5]
	s_and_saveexec_b64 s[0:1], vcc
	s_cbranch_execz .LBB86_31
; %bb.1:
	s_load_dwordx2 s[0:1], s[4:5], 0x20
	v_lshlrev_b32_e32 v1, 3, v4
	v_mov_b32_e32 v22, 3
	s_mov_b64 s[10:11], -1
	s_mov_b64 s[8:9], 0
	s_waitcnt lgkmcnt(0)
	global_load_dwordx4 v[10:13], v1, s[0:1]
	s_load_dwordx2 s[0:1], s[0:1], 0x0
	s_waitcnt lgkmcnt(0)
	v_mov_b32_e32 v1, s1
	s_waitcnt vmcnt(0)
	v_subrev_co_u32_e32 v6, vcc, s0, v10
	v_subb_co_u32_e32 v7, vcc, v11, v1, vcc
	v_subrev_co_u32_e32 v8, vcc, s0, v12
	v_subb_co_u32_e32 v9, vcc, v13, v1, vcc
	v_cmp_gt_i64_e64 s[0:1], 0, v[8:9]
	v_cmp_lt_i64_e64 s[2:3], v[12:13], v[10:11]
	v_cmp_lt_i64_e32 vcc, -1, v[6:7]
	s_or_b64 s[0:1], s[0:1], s[2:3]
	s_xor_b64 s[0:1], s[0:1], -1
	s_and_b64 s[0:1], vcc, s[0:1]
	s_and_saveexec_b64 s[6:7], s[0:1]
	s_cbranch_execz .LBB86_29
; %bb.2:
	v_and_b32_e32 v0, 31, v0
	v_add_co_u32_e32 v10, vcc, v6, v0
	v_addc_co_u32_e32 v11, vcc, 0, v7, vcc
	v_cmp_lt_u64_e32 vcc, v[10:11], v[8:9]
	v_mov_b32_e32 v22, 3
	s_and_saveexec_b64 s[16:17], vcc
	s_cbranch_execz .LBB86_28
; %bb.3:
	s_load_dwordx8 s[8:15], s[4:5], 0x28
	s_load_dwordx2 s[0:1], s[4:5], 0x18
	v_lshlrev_b64 v[0:1], 3, v[10:11]
                                        ; implicit-def: $sgpr24_sgpr25
                                        ; implicit-def: $sgpr26_sgpr27
                                        ; implicit-def: $sgpr28_sgpr29
	v_add_co_u32_e32 v0, vcc, -8, v0
	v_addc_co_u32_e32 v1, vcc, -1, v1, vcc
	s_waitcnt lgkmcnt(0)
	v_mov_b32_e32 v2, s11
	v_add_co_u32_e32 v12, vcc, s10, v0
	v_addc_co_u32_e32 v13, vcc, v2, v1, vcc
	v_mov_b32_e32 v2, s9
	v_add_co_u32_e32 v14, vcc, s8, v0
	v_addc_co_u32_e32 v15, vcc, v2, v1, vcc
	v_lshlrev_b64 v[0:1], 4, v[10:11]
	s_cmp_lg_u32 s13, 0
	v_mov_b32_e32 v2, s1
	v_add_co_u32_e32 v0, vcc, s0, v0
	s_cselect_b64 s[20:21], -1, 0
	s_cmp_lg_u32 s14, 0
	v_addc_co_u32_e32 v1, vcc, v2, v1, vcc
	s_cselect_b64 s[22:23], -1, 0
	s_cmp_lg_u32 s15, 0
	v_add_co_u32_e32 v16, vcc, 8, v0
	s_mov_b32 s10, 0
	s_cselect_b64 s[14:15], -1, 0
	v_addc_co_u32_e32 v17, vcc, 0, v1, vcc
	s_mov_b32 s11, 0x7ff00000
	s_mov_b64 s[8:9], 0
	s_branch .LBB86_10
.LBB86_4:                               ;   in Loop: Header=BB86_10 Depth=1
	s_or_b64 exec, exec, s[0:1]
	s_orn2_b64 s[44:45], s[2:3], exec
	s_orn2_b64 s[0:1], s[40:41], exec
.LBB86_5:                               ;   in Loop: Header=BB86_10 Depth=1
	s_or_b64 exec, exec, s[42:43]
	s_orn2_b64 s[2:3], s[44:45], exec
	s_orn2_b64 s[0:1], s[0:1], exec
.LBB86_6:                               ;   in Loop: Header=BB86_10 Depth=1
	s_or_b64 exec, exec, s[38:39]
	s_orn2_b64 s[38:39], s[2:3], exec
	s_orn2_b64 s[2:3], s[0:1], exec
.LBB86_7:                               ;   in Loop: Header=BB86_10 Depth=1
	s_or_b64 exec, exec, s[36:37]
	s_orn2_b64 s[36:37], s[38:39], exec
	s_orn2_b64 s[0:1], s[2:3], exec
.LBB86_8:                               ;   in Loop: Header=BB86_10 Depth=1
	s_or_b64 exec, exec, s[34:35]
	s_andn2_b64 s[2:3], s[28:29], exec
	s_and_b64 s[28:29], s[36:37], exec
	s_or_b64 s[28:29], s[2:3], s[28:29]
	s_andn2_b64 s[2:3], s[26:27], exec
	s_and_b64 s[0:1], s[0:1], exec
	s_or_b64 s[26:27], s[2:3], s[0:1]
.LBB86_9:                               ;   in Loop: Header=BB86_10 Depth=1
	s_or_b64 exec, exec, s[30:31]
	s_and_b64 s[0:1], exec, s[26:27]
	s_or_b64 s[8:9], s[0:1], s[8:9]
	s_andn2_b64 s[0:1], s[24:25], exec
	s_and_b64 s[2:3], s[28:29], exec
	s_or_b64 s[24:25], s[0:1], s[2:3]
	s_andn2_b64 exec, exec, s[8:9]
	s_cbranch_execz .LBB86_27
.LBB86_10:                              ; =>This Inner Loop Header: Depth=1
	global_load_dwordx2 v[18:19], v[14:15], off offset:8
	v_mov_b32_e32 v22, 4
	s_or_b64 s[28:29], s[28:29], exec
	s_or_b64 s[26:27], s[26:27], exec
	s_waitcnt vmcnt(0)
	v_subrev_co_u32_e32 v20, vcc, s12, v18
	v_subbrev_co_u32_e32 v21, vcc, 0, v19, vcc
	v_cmp_lt_i64_e32 vcc, -1, v[20:21]
	v_cmp_gt_i64_e64 s[0:1], s[18:19], v[20:21]
	s_and_b64 s[0:1], vcc, s[0:1]
	s_and_saveexec_b64 s[30:31], s[0:1]
	s_cbranch_execz .LBB86_9
; %bb.11:                               ;   in Loop: Header=BB86_10 Depth=1
	v_cmp_le_i64_e64 s[40:41], v[10:11], v[6:7]
	v_cmp_gt_i64_e32 vcc, v[10:11], v[6:7]
	v_mov_b32_e32 v22, 4
	s_mov_b64 s[2:3], s[40:41]
	s_and_saveexec_b64 s[34:35], vcc
	s_cbranch_execz .LBB86_13
; %bb.12:                               ;   in Loop: Header=BB86_10 Depth=1
	global_load_dwordx4 v[0:3], v[12:13], off
	s_waitcnt vmcnt(0)
	v_subrev_co_u32_e32 v22, vcc, s12, v0
	v_subbrev_co_u32_e32 v23, vcc, 0, v1, vcc
	v_cmp_lt_i64_e64 s[0:1], -1, v[22:23]
	v_cmp_gt_i64_e64 s[2:3], s[18:19], v[22:23]
	v_cmp_ne_u64_e32 vcc, v[2:3], v[0:1]
	s_and_b64 s[0:1], s[0:1], s[2:3]
	s_xor_b64 s[0:1], s[0:1], -1
	s_or_b64 s[0:1], vcc, s[0:1]
	s_andn2_b64 s[2:3], s[40:41], exec
	s_and_b64 s[0:1], s[0:1], exec
	v_mov_b32_e32 v22, 5
	s_or_b64 s[2:3], s[2:3], s[0:1]
.LBB86_13:                              ;   in Loop: Header=BB86_10 Depth=1
	s_or_b64 exec, exec, s[34:35]
	s_mov_b64 s[0:1], -1
	s_mov_b64 s[36:37], -1
	s_and_saveexec_b64 s[34:35], s[2:3]
	s_cbranch_execz .LBB86_8
; %bb.14:                               ;   in Loop: Header=BB86_10 Depth=1
	global_load_dwordx4 v[0:3], v[16:17], off offset:-8
	v_mov_b32_e32 v22, 1
	s_mov_b64 s[2:3], -1
	s_mov_b64 s[38:39], -1
	s_waitcnt vmcnt(0)
	v_cmp_neq_f64_e32 vcc, s[10:11], v[0:1]
	v_cmp_neq_f64_e64 s[0:1], s[10:11], v[2:3]
	s_and_b64 s[0:1], vcc, s[0:1]
	s_and_saveexec_b64 s[36:37], s[0:1]
	s_cbranch_execz .LBB86_7
; %bb.15:                               ;   in Loop: Header=BB86_10 Depth=1
	v_cmp_o_f64_e32 vcc, v[0:1], v[2:3]
	v_mov_b32_e32 v22, 2
	s_mov_b64 s[0:1], -1
	s_and_saveexec_b64 s[38:39], vcc
	s_cbranch_execz .LBB86_6
; %bb.16:                               ;   in Loop: Header=BB86_10 Depth=1
	s_and_b64 vcc, exec, s[20:21]
	s_cbranch_vccz .LBB86_19
; %bb.17:                               ;   in Loop: Header=BB86_10 Depth=1
	s_and_b64 vcc, exec, s[22:23]
	s_cbranch_vccz .LBB86_20
; %bb.18:                               ;   in Loop: Header=BB86_10 Depth=1
	v_cmp_ge_i64_e32 vcc, v[20:21], v[4:5]
	s_mov_b32 s13, 7
	s_and_b64 s[2:3], vcc, exec
	s_cbranch_execz .LBB86_21
	s_branch .LBB86_22
.LBB86_19:                              ;   in Loop: Header=BB86_10 Depth=1
	s_mov_b32 s13, 2
	s_branch .LBB86_22
.LBB86_20:                              ;   in Loop: Header=BB86_10 Depth=1
	s_mov_b64 s[2:3], 0
	s_mov_b32 s13, 2
.LBB86_21:                              ;   in Loop: Header=BB86_10 Depth=1
	v_cmp_le_i64_e32 vcc, v[20:21], v[4:5]
	s_andn2_b64 s[2:3], s[2:3], exec
	s_and_b64 s[42:43], vcc, exec
	s_mov_b32 s13, 7
	s_or_b64 s[2:3], s[2:3], s[42:43]
.LBB86_22:                              ;   in Loop: Header=BB86_10 Depth=1
	v_mov_b32_e32 v22, s13
	s_mov_b64 s[44:45], -1
	s_and_saveexec_b64 s[42:43], s[2:3]
	s_cbranch_execz .LBB86_5
; %bb.23:                               ;   in Loop: Header=BB86_10 Depth=1
	s_nor_b64 s[0:1], s[14:15], s[40:41]
	s_mov_b64 s[40:41], -1
	v_mov_b32_e32 v22, s13
	s_mov_b64 s[46:47], -1
	s_and_saveexec_b64 s[44:45], s[0:1]
	s_cbranch_execz .LBB86_25
; %bb.24:                               ;   in Loop: Header=BB86_10 Depth=1
	global_load_dwordx2 v[0:1], v[14:15], off
	v_mov_b32_e32 v22, 6
	s_waitcnt vmcnt(0)
	v_subrev_co_u32_e32 v2, vcc, s12, v0
	v_subbrev_co_u32_e32 v3, vcc, 0, v1, vcc
	v_cmp_lt_i64_e32 vcc, -1, v[2:3]
	v_cmp_gt_i64_e64 s[0:1], s[18:19], v[2:3]
	v_cmp_gt_i64_e64 s[2:3], v[18:19], v[0:1]
	s_and_b64 s[0:1], vcc, s[0:1]
	s_xor_b64 s[0:1], s[0:1], -1
	s_or_b64 s[0:1], s[2:3], s[0:1]
	s_orn2_b64 s[46:47], s[0:1], exec
.LBB86_25:                              ;   in Loop: Header=BB86_10 Depth=1
	s_or_b64 exec, exec, s[44:45]
	s_mov_b64 s[2:3], -1
	s_and_saveexec_b64 s[0:1], s[46:47]
	s_cbranch_execz .LBB86_4
; %bb.26:                               ;   in Loop: Header=BB86_10 Depth=1
	v_add_co_u32_e32 v10, vcc, 32, v10
	v_addc_co_u32_e32 v11, vcc, 0, v11, vcc
	v_add_co_u32_e32 v12, vcc, 0x100, v12
	v_addc_co_u32_e32 v13, vcc, 0, v13, vcc
	;; [unrolled: 2-line block ×4, first 2 shown]
	v_cmp_ge_i64_e32 vcc, v[10:11], v[8:9]
	s_xor_b64 s[2:3], exec, -1
	s_orn2_b64 s[40:41], vcc, exec
	s_branch .LBB86_4
.LBB86_27:
	s_or_b64 exec, exec, s[8:9]
	s_and_b64 s[8:9], s[24:25], exec
.LBB86_28:
	s_or_b64 exec, exec, s[16:17]
	s_orn2_b64 s[10:11], s[8:9], exec
.LBB86_29:
	s_or_b64 exec, exec, s[6:7]
	s_and_b64 exec, exec, s[10:11]
	s_cbranch_execz .LBB86_31
; %bb.30:
	s_load_dwordx2 s[0:1], s[4:5], 0x48
	v_mov_b32_e32 v0, 0
	s_waitcnt lgkmcnt(0)
	global_store_dword v0, v22, s[0:1]
.LBB86_31:
	s_endpgm
	.section	.rodata,"a",@progbits
	.p2align	6, 0x0
	.amdhsa_kernel _ZN9rocsparseL23check_matrix_csr_deviceILj256ELj32E21rocsparse_complex_numIdEllEEvT3_S3_T2_PKT1_PKS4_PKS3_SB_21rocsparse_index_base_22rocsparse_matrix_type_20rocsparse_fill_mode_23rocsparse_storage_mode_P22rocsparse_data_status_
		.amdhsa_group_segment_fixed_size 0
		.amdhsa_private_segment_fixed_size 0
		.amdhsa_kernarg_size 80
		.amdhsa_user_sgpr_count 6
		.amdhsa_user_sgpr_private_segment_buffer 1
		.amdhsa_user_sgpr_dispatch_ptr 0
		.amdhsa_user_sgpr_queue_ptr 0
		.amdhsa_user_sgpr_kernarg_segment_ptr 1
		.amdhsa_user_sgpr_dispatch_id 0
		.amdhsa_user_sgpr_flat_scratch_init 0
		.amdhsa_user_sgpr_private_segment_size 0
		.amdhsa_uses_dynamic_stack 0
		.amdhsa_system_sgpr_private_segment_wavefront_offset 0
		.amdhsa_system_sgpr_workgroup_id_x 1
		.amdhsa_system_sgpr_workgroup_id_y 0
		.amdhsa_system_sgpr_workgroup_id_z 0
		.amdhsa_system_sgpr_workgroup_info 0
		.amdhsa_system_vgpr_workitem_id 0
		.amdhsa_next_free_vgpr 24
		.amdhsa_next_free_sgpr 48
		.amdhsa_reserve_vcc 1
		.amdhsa_reserve_flat_scratch 0
		.amdhsa_float_round_mode_32 0
		.amdhsa_float_round_mode_16_64 0
		.amdhsa_float_denorm_mode_32 3
		.amdhsa_float_denorm_mode_16_64 3
		.amdhsa_dx10_clamp 1
		.amdhsa_ieee_mode 1
		.amdhsa_fp16_overflow 0
		.amdhsa_exception_fp_ieee_invalid_op 0
		.amdhsa_exception_fp_denorm_src 0
		.amdhsa_exception_fp_ieee_div_zero 0
		.amdhsa_exception_fp_ieee_overflow 0
		.amdhsa_exception_fp_ieee_underflow 0
		.amdhsa_exception_fp_ieee_inexact 0
		.amdhsa_exception_int_div_zero 0
	.end_amdhsa_kernel
	.section	.text._ZN9rocsparseL23check_matrix_csr_deviceILj256ELj32E21rocsparse_complex_numIdEllEEvT3_S3_T2_PKT1_PKS4_PKS3_SB_21rocsparse_index_base_22rocsparse_matrix_type_20rocsparse_fill_mode_23rocsparse_storage_mode_P22rocsparse_data_status_,"axG",@progbits,_ZN9rocsparseL23check_matrix_csr_deviceILj256ELj32E21rocsparse_complex_numIdEllEEvT3_S3_T2_PKT1_PKS4_PKS3_SB_21rocsparse_index_base_22rocsparse_matrix_type_20rocsparse_fill_mode_23rocsparse_storage_mode_P22rocsparse_data_status_,comdat
.Lfunc_end86:
	.size	_ZN9rocsparseL23check_matrix_csr_deviceILj256ELj32E21rocsparse_complex_numIdEllEEvT3_S3_T2_PKT1_PKS4_PKS3_SB_21rocsparse_index_base_22rocsparse_matrix_type_20rocsparse_fill_mode_23rocsparse_storage_mode_P22rocsparse_data_status_, .Lfunc_end86-_ZN9rocsparseL23check_matrix_csr_deviceILj256ELj32E21rocsparse_complex_numIdEllEEvT3_S3_T2_PKT1_PKS4_PKS3_SB_21rocsparse_index_base_22rocsparse_matrix_type_20rocsparse_fill_mode_23rocsparse_storage_mode_P22rocsparse_data_status_
                                        ; -- End function
	.set _ZN9rocsparseL23check_matrix_csr_deviceILj256ELj32E21rocsparse_complex_numIdEllEEvT3_S3_T2_PKT1_PKS4_PKS3_SB_21rocsparse_index_base_22rocsparse_matrix_type_20rocsparse_fill_mode_23rocsparse_storage_mode_P22rocsparse_data_status_.num_vgpr, 24
	.set _ZN9rocsparseL23check_matrix_csr_deviceILj256ELj32E21rocsparse_complex_numIdEllEEvT3_S3_T2_PKT1_PKS4_PKS3_SB_21rocsparse_index_base_22rocsparse_matrix_type_20rocsparse_fill_mode_23rocsparse_storage_mode_P22rocsparse_data_status_.num_agpr, 0
	.set _ZN9rocsparseL23check_matrix_csr_deviceILj256ELj32E21rocsparse_complex_numIdEllEEvT3_S3_T2_PKT1_PKS4_PKS3_SB_21rocsparse_index_base_22rocsparse_matrix_type_20rocsparse_fill_mode_23rocsparse_storage_mode_P22rocsparse_data_status_.numbered_sgpr, 48
	.set _ZN9rocsparseL23check_matrix_csr_deviceILj256ELj32E21rocsparse_complex_numIdEllEEvT3_S3_T2_PKT1_PKS4_PKS3_SB_21rocsparse_index_base_22rocsparse_matrix_type_20rocsparse_fill_mode_23rocsparse_storage_mode_P22rocsparse_data_status_.num_named_barrier, 0
	.set _ZN9rocsparseL23check_matrix_csr_deviceILj256ELj32E21rocsparse_complex_numIdEllEEvT3_S3_T2_PKT1_PKS4_PKS3_SB_21rocsparse_index_base_22rocsparse_matrix_type_20rocsparse_fill_mode_23rocsparse_storage_mode_P22rocsparse_data_status_.private_seg_size, 0
	.set _ZN9rocsparseL23check_matrix_csr_deviceILj256ELj32E21rocsparse_complex_numIdEllEEvT3_S3_T2_PKT1_PKS4_PKS3_SB_21rocsparse_index_base_22rocsparse_matrix_type_20rocsparse_fill_mode_23rocsparse_storage_mode_P22rocsparse_data_status_.uses_vcc, 1
	.set _ZN9rocsparseL23check_matrix_csr_deviceILj256ELj32E21rocsparse_complex_numIdEllEEvT3_S3_T2_PKT1_PKS4_PKS3_SB_21rocsparse_index_base_22rocsparse_matrix_type_20rocsparse_fill_mode_23rocsparse_storage_mode_P22rocsparse_data_status_.uses_flat_scratch, 0
	.set _ZN9rocsparseL23check_matrix_csr_deviceILj256ELj32E21rocsparse_complex_numIdEllEEvT3_S3_T2_PKT1_PKS4_PKS3_SB_21rocsparse_index_base_22rocsparse_matrix_type_20rocsparse_fill_mode_23rocsparse_storage_mode_P22rocsparse_data_status_.has_dyn_sized_stack, 0
	.set _ZN9rocsparseL23check_matrix_csr_deviceILj256ELj32E21rocsparse_complex_numIdEllEEvT3_S3_T2_PKT1_PKS4_PKS3_SB_21rocsparse_index_base_22rocsparse_matrix_type_20rocsparse_fill_mode_23rocsparse_storage_mode_P22rocsparse_data_status_.has_recursion, 0
	.set _ZN9rocsparseL23check_matrix_csr_deviceILj256ELj32E21rocsparse_complex_numIdEllEEvT3_S3_T2_PKT1_PKS4_PKS3_SB_21rocsparse_index_base_22rocsparse_matrix_type_20rocsparse_fill_mode_23rocsparse_storage_mode_P22rocsparse_data_status_.has_indirect_call, 0
	.section	.AMDGPU.csdata,"",@progbits
; Kernel info:
; codeLenInByte = 964
; TotalNumSgprs: 52
; NumVgprs: 24
; ScratchSize: 0
; MemoryBound: 0
; FloatMode: 240
; IeeeMode: 1
; LDSByteSize: 0 bytes/workgroup (compile time only)
; SGPRBlocks: 6
; VGPRBlocks: 5
; NumSGPRsForWavesPerEU: 52
; NumVGPRsForWavesPerEU: 24
; Occupancy: 10
; WaveLimiterHint : 0
; COMPUTE_PGM_RSRC2:SCRATCH_EN: 0
; COMPUTE_PGM_RSRC2:USER_SGPR: 6
; COMPUTE_PGM_RSRC2:TRAP_HANDLER: 0
; COMPUTE_PGM_RSRC2:TGID_X_EN: 1
; COMPUTE_PGM_RSRC2:TGID_Y_EN: 0
; COMPUTE_PGM_RSRC2:TGID_Z_EN: 0
; COMPUTE_PGM_RSRC2:TIDIG_COMP_CNT: 0
	.section	.text._ZN9rocsparseL23check_matrix_csr_deviceILj256ELj64E21rocsparse_complex_numIdEllEEvT3_S3_T2_PKT1_PKS4_PKS3_SB_21rocsparse_index_base_22rocsparse_matrix_type_20rocsparse_fill_mode_23rocsparse_storage_mode_P22rocsparse_data_status_,"axG",@progbits,_ZN9rocsparseL23check_matrix_csr_deviceILj256ELj64E21rocsparse_complex_numIdEllEEvT3_S3_T2_PKT1_PKS4_PKS3_SB_21rocsparse_index_base_22rocsparse_matrix_type_20rocsparse_fill_mode_23rocsparse_storage_mode_P22rocsparse_data_status_,comdat
	.globl	_ZN9rocsparseL23check_matrix_csr_deviceILj256ELj64E21rocsparse_complex_numIdEllEEvT3_S3_T2_PKT1_PKS4_PKS3_SB_21rocsparse_index_base_22rocsparse_matrix_type_20rocsparse_fill_mode_23rocsparse_storage_mode_P22rocsparse_data_status_ ; -- Begin function _ZN9rocsparseL23check_matrix_csr_deviceILj256ELj64E21rocsparse_complex_numIdEllEEvT3_S3_T2_PKT1_PKS4_PKS3_SB_21rocsparse_index_base_22rocsparse_matrix_type_20rocsparse_fill_mode_23rocsparse_storage_mode_P22rocsparse_data_status_
	.p2align	8
	.type	_ZN9rocsparseL23check_matrix_csr_deviceILj256ELj64E21rocsparse_complex_numIdEllEEvT3_S3_T2_PKT1_PKS4_PKS3_SB_21rocsparse_index_base_22rocsparse_matrix_type_20rocsparse_fill_mode_23rocsparse_storage_mode_P22rocsparse_data_status_,@function
_ZN9rocsparseL23check_matrix_csr_deviceILj256ELj64E21rocsparse_complex_numIdEllEEvT3_S3_T2_PKT1_PKS4_PKS3_SB_21rocsparse_index_base_22rocsparse_matrix_type_20rocsparse_fill_mode_23rocsparse_storage_mode_P22rocsparse_data_status_: ; @_ZN9rocsparseL23check_matrix_csr_deviceILj256ELj64E21rocsparse_complex_numIdEllEEvT3_S3_T2_PKT1_PKS4_PKS3_SB_21rocsparse_index_base_22rocsparse_matrix_type_20rocsparse_fill_mode_23rocsparse_storage_mode_P22rocsparse_data_status_
; %bb.0:
	s_load_dwordx4 s[16:19], s[4:5], 0x0
	v_lshl_or_b32 v1, s6, 8, v0
	v_lshrrev_b32_e32 v4, 6, v1
	v_mov_b32_e32 v5, 0
	s_waitcnt lgkmcnt(0)
	v_cmp_gt_i64_e32 vcc, s[16:17], v[4:5]
	s_and_saveexec_b64 s[0:1], vcc
	s_cbranch_execz .LBB87_31
; %bb.1:
	s_load_dwordx2 s[0:1], s[4:5], 0x20
	v_lshlrev_b32_e32 v1, 3, v4
	v_mov_b32_e32 v22, 3
	s_mov_b64 s[10:11], -1
	s_mov_b64 s[8:9], 0
	s_waitcnt lgkmcnt(0)
	global_load_dwordx4 v[10:13], v1, s[0:1]
	s_load_dwordx2 s[0:1], s[0:1], 0x0
	s_waitcnt lgkmcnt(0)
	v_mov_b32_e32 v1, s1
	s_waitcnt vmcnt(0)
	v_subrev_co_u32_e32 v6, vcc, s0, v10
	v_subb_co_u32_e32 v7, vcc, v11, v1, vcc
	v_subrev_co_u32_e32 v8, vcc, s0, v12
	v_subb_co_u32_e32 v9, vcc, v13, v1, vcc
	v_cmp_gt_i64_e64 s[0:1], 0, v[8:9]
	v_cmp_lt_i64_e64 s[2:3], v[12:13], v[10:11]
	v_cmp_lt_i64_e32 vcc, -1, v[6:7]
	s_or_b64 s[0:1], s[0:1], s[2:3]
	s_xor_b64 s[0:1], s[0:1], -1
	s_and_b64 s[0:1], vcc, s[0:1]
	s_and_saveexec_b64 s[6:7], s[0:1]
	s_cbranch_execz .LBB87_29
; %bb.2:
	v_and_b32_e32 v0, 63, v0
	v_add_co_u32_e32 v10, vcc, v6, v0
	v_addc_co_u32_e32 v11, vcc, 0, v7, vcc
	v_cmp_lt_u64_e32 vcc, v[10:11], v[8:9]
	v_mov_b32_e32 v22, 3
	s_and_saveexec_b64 s[16:17], vcc
	s_cbranch_execz .LBB87_28
; %bb.3:
	s_load_dwordx8 s[8:15], s[4:5], 0x28
	s_load_dwordx2 s[0:1], s[4:5], 0x18
	v_lshlrev_b64 v[0:1], 3, v[10:11]
                                        ; implicit-def: $sgpr24_sgpr25
                                        ; implicit-def: $sgpr26_sgpr27
                                        ; implicit-def: $sgpr28_sgpr29
	v_add_co_u32_e32 v0, vcc, -8, v0
	v_addc_co_u32_e32 v1, vcc, -1, v1, vcc
	s_waitcnt lgkmcnt(0)
	v_mov_b32_e32 v2, s11
	v_add_co_u32_e32 v12, vcc, s10, v0
	v_addc_co_u32_e32 v13, vcc, v2, v1, vcc
	v_mov_b32_e32 v2, s9
	v_add_co_u32_e32 v14, vcc, s8, v0
	v_addc_co_u32_e32 v15, vcc, v2, v1, vcc
	v_lshlrev_b64 v[0:1], 4, v[10:11]
	s_cmp_lg_u32 s13, 0
	v_mov_b32_e32 v2, s1
	v_add_co_u32_e32 v0, vcc, s0, v0
	s_cselect_b64 s[20:21], -1, 0
	s_cmp_lg_u32 s14, 0
	v_addc_co_u32_e32 v1, vcc, v2, v1, vcc
	s_cselect_b64 s[22:23], -1, 0
	s_cmp_lg_u32 s15, 0
	v_add_co_u32_e32 v16, vcc, 8, v0
	s_mov_b32 s10, 0
	s_cselect_b64 s[14:15], -1, 0
	v_addc_co_u32_e32 v17, vcc, 0, v1, vcc
	s_mov_b32 s11, 0x7ff00000
	s_mov_b64 s[8:9], 0
	s_branch .LBB87_10
.LBB87_4:                               ;   in Loop: Header=BB87_10 Depth=1
	s_or_b64 exec, exec, s[0:1]
	s_orn2_b64 s[44:45], s[2:3], exec
	s_orn2_b64 s[0:1], s[40:41], exec
.LBB87_5:                               ;   in Loop: Header=BB87_10 Depth=1
	s_or_b64 exec, exec, s[42:43]
	s_orn2_b64 s[2:3], s[44:45], exec
	s_orn2_b64 s[0:1], s[0:1], exec
.LBB87_6:                               ;   in Loop: Header=BB87_10 Depth=1
	s_or_b64 exec, exec, s[38:39]
	s_orn2_b64 s[38:39], s[2:3], exec
	s_orn2_b64 s[2:3], s[0:1], exec
.LBB87_7:                               ;   in Loop: Header=BB87_10 Depth=1
	s_or_b64 exec, exec, s[36:37]
	s_orn2_b64 s[36:37], s[38:39], exec
	s_orn2_b64 s[0:1], s[2:3], exec
.LBB87_8:                               ;   in Loop: Header=BB87_10 Depth=1
	s_or_b64 exec, exec, s[34:35]
	s_andn2_b64 s[2:3], s[28:29], exec
	s_and_b64 s[28:29], s[36:37], exec
	s_or_b64 s[28:29], s[2:3], s[28:29]
	s_andn2_b64 s[2:3], s[26:27], exec
	s_and_b64 s[0:1], s[0:1], exec
	s_or_b64 s[26:27], s[2:3], s[0:1]
.LBB87_9:                               ;   in Loop: Header=BB87_10 Depth=1
	s_or_b64 exec, exec, s[30:31]
	s_and_b64 s[0:1], exec, s[26:27]
	s_or_b64 s[8:9], s[0:1], s[8:9]
	s_andn2_b64 s[0:1], s[24:25], exec
	s_and_b64 s[2:3], s[28:29], exec
	s_or_b64 s[24:25], s[0:1], s[2:3]
	s_andn2_b64 exec, exec, s[8:9]
	s_cbranch_execz .LBB87_27
.LBB87_10:                              ; =>This Inner Loop Header: Depth=1
	global_load_dwordx2 v[18:19], v[14:15], off offset:8
	v_mov_b32_e32 v22, 4
	s_or_b64 s[28:29], s[28:29], exec
	s_or_b64 s[26:27], s[26:27], exec
	s_waitcnt vmcnt(0)
	v_subrev_co_u32_e32 v20, vcc, s12, v18
	v_subbrev_co_u32_e32 v21, vcc, 0, v19, vcc
	v_cmp_lt_i64_e32 vcc, -1, v[20:21]
	v_cmp_gt_i64_e64 s[0:1], s[18:19], v[20:21]
	s_and_b64 s[0:1], vcc, s[0:1]
	s_and_saveexec_b64 s[30:31], s[0:1]
	s_cbranch_execz .LBB87_9
; %bb.11:                               ;   in Loop: Header=BB87_10 Depth=1
	v_cmp_le_i64_e64 s[40:41], v[10:11], v[6:7]
	v_cmp_gt_i64_e32 vcc, v[10:11], v[6:7]
	v_mov_b32_e32 v22, 4
	s_mov_b64 s[2:3], s[40:41]
	s_and_saveexec_b64 s[34:35], vcc
	s_cbranch_execz .LBB87_13
; %bb.12:                               ;   in Loop: Header=BB87_10 Depth=1
	global_load_dwordx4 v[0:3], v[12:13], off
	s_waitcnt vmcnt(0)
	v_subrev_co_u32_e32 v22, vcc, s12, v0
	v_subbrev_co_u32_e32 v23, vcc, 0, v1, vcc
	v_cmp_lt_i64_e64 s[0:1], -1, v[22:23]
	v_cmp_gt_i64_e64 s[2:3], s[18:19], v[22:23]
	v_cmp_ne_u64_e32 vcc, v[2:3], v[0:1]
	s_and_b64 s[0:1], s[0:1], s[2:3]
	s_xor_b64 s[0:1], s[0:1], -1
	s_or_b64 s[0:1], vcc, s[0:1]
	s_andn2_b64 s[2:3], s[40:41], exec
	s_and_b64 s[0:1], s[0:1], exec
	v_mov_b32_e32 v22, 5
	s_or_b64 s[2:3], s[2:3], s[0:1]
.LBB87_13:                              ;   in Loop: Header=BB87_10 Depth=1
	s_or_b64 exec, exec, s[34:35]
	s_mov_b64 s[0:1], -1
	s_mov_b64 s[36:37], -1
	s_and_saveexec_b64 s[34:35], s[2:3]
	s_cbranch_execz .LBB87_8
; %bb.14:                               ;   in Loop: Header=BB87_10 Depth=1
	global_load_dwordx4 v[0:3], v[16:17], off offset:-8
	v_mov_b32_e32 v22, 1
	s_mov_b64 s[2:3], -1
	s_mov_b64 s[38:39], -1
	s_waitcnt vmcnt(0)
	v_cmp_neq_f64_e32 vcc, s[10:11], v[0:1]
	v_cmp_neq_f64_e64 s[0:1], s[10:11], v[2:3]
	s_and_b64 s[0:1], vcc, s[0:1]
	s_and_saveexec_b64 s[36:37], s[0:1]
	s_cbranch_execz .LBB87_7
; %bb.15:                               ;   in Loop: Header=BB87_10 Depth=1
	v_cmp_o_f64_e32 vcc, v[0:1], v[2:3]
	v_mov_b32_e32 v22, 2
	s_mov_b64 s[0:1], -1
	s_and_saveexec_b64 s[38:39], vcc
	s_cbranch_execz .LBB87_6
; %bb.16:                               ;   in Loop: Header=BB87_10 Depth=1
	s_and_b64 vcc, exec, s[20:21]
	s_cbranch_vccz .LBB87_19
; %bb.17:                               ;   in Loop: Header=BB87_10 Depth=1
	s_and_b64 vcc, exec, s[22:23]
	s_cbranch_vccz .LBB87_20
; %bb.18:                               ;   in Loop: Header=BB87_10 Depth=1
	v_cmp_ge_i64_e32 vcc, v[20:21], v[4:5]
	s_mov_b32 s13, 7
	s_and_b64 s[2:3], vcc, exec
	s_cbranch_execz .LBB87_21
	s_branch .LBB87_22
.LBB87_19:                              ;   in Loop: Header=BB87_10 Depth=1
	s_mov_b32 s13, 2
	s_branch .LBB87_22
.LBB87_20:                              ;   in Loop: Header=BB87_10 Depth=1
	s_mov_b64 s[2:3], 0
	s_mov_b32 s13, 2
.LBB87_21:                              ;   in Loop: Header=BB87_10 Depth=1
	v_cmp_le_i64_e32 vcc, v[20:21], v[4:5]
	s_andn2_b64 s[2:3], s[2:3], exec
	s_and_b64 s[42:43], vcc, exec
	s_mov_b32 s13, 7
	s_or_b64 s[2:3], s[2:3], s[42:43]
.LBB87_22:                              ;   in Loop: Header=BB87_10 Depth=1
	v_mov_b32_e32 v22, s13
	s_mov_b64 s[44:45], -1
	s_and_saveexec_b64 s[42:43], s[2:3]
	s_cbranch_execz .LBB87_5
; %bb.23:                               ;   in Loop: Header=BB87_10 Depth=1
	s_nor_b64 s[0:1], s[14:15], s[40:41]
	s_mov_b64 s[40:41], -1
	v_mov_b32_e32 v22, s13
	s_mov_b64 s[46:47], -1
	s_and_saveexec_b64 s[44:45], s[0:1]
	s_cbranch_execz .LBB87_25
; %bb.24:                               ;   in Loop: Header=BB87_10 Depth=1
	global_load_dwordx2 v[0:1], v[14:15], off
	v_mov_b32_e32 v22, 6
	s_waitcnt vmcnt(0)
	v_subrev_co_u32_e32 v2, vcc, s12, v0
	v_subbrev_co_u32_e32 v3, vcc, 0, v1, vcc
	v_cmp_lt_i64_e32 vcc, -1, v[2:3]
	v_cmp_gt_i64_e64 s[0:1], s[18:19], v[2:3]
	v_cmp_gt_i64_e64 s[2:3], v[18:19], v[0:1]
	s_and_b64 s[0:1], vcc, s[0:1]
	s_xor_b64 s[0:1], s[0:1], -1
	s_or_b64 s[0:1], s[2:3], s[0:1]
	s_orn2_b64 s[46:47], s[0:1], exec
.LBB87_25:                              ;   in Loop: Header=BB87_10 Depth=1
	s_or_b64 exec, exec, s[44:45]
	s_mov_b64 s[2:3], -1
	s_and_saveexec_b64 s[0:1], s[46:47]
	s_cbranch_execz .LBB87_4
; %bb.26:                               ;   in Loop: Header=BB87_10 Depth=1
	v_add_co_u32_e32 v10, vcc, 64, v10
	v_addc_co_u32_e32 v11, vcc, 0, v11, vcc
	v_add_co_u32_e32 v12, vcc, 0x200, v12
	v_addc_co_u32_e32 v13, vcc, 0, v13, vcc
	;; [unrolled: 2-line block ×4, first 2 shown]
	v_cmp_ge_i64_e32 vcc, v[10:11], v[8:9]
	s_xor_b64 s[2:3], exec, -1
	s_orn2_b64 s[40:41], vcc, exec
	s_branch .LBB87_4
.LBB87_27:
	s_or_b64 exec, exec, s[8:9]
	s_and_b64 s[8:9], s[24:25], exec
.LBB87_28:
	s_or_b64 exec, exec, s[16:17]
	s_orn2_b64 s[10:11], s[8:9], exec
.LBB87_29:
	s_or_b64 exec, exec, s[6:7]
	s_and_b64 exec, exec, s[10:11]
	s_cbranch_execz .LBB87_31
; %bb.30:
	s_load_dwordx2 s[0:1], s[4:5], 0x48
	v_mov_b32_e32 v0, 0
	s_waitcnt lgkmcnt(0)
	global_store_dword v0, v22, s[0:1]
.LBB87_31:
	s_endpgm
	.section	.rodata,"a",@progbits
	.p2align	6, 0x0
	.amdhsa_kernel _ZN9rocsparseL23check_matrix_csr_deviceILj256ELj64E21rocsparse_complex_numIdEllEEvT3_S3_T2_PKT1_PKS4_PKS3_SB_21rocsparse_index_base_22rocsparse_matrix_type_20rocsparse_fill_mode_23rocsparse_storage_mode_P22rocsparse_data_status_
		.amdhsa_group_segment_fixed_size 0
		.amdhsa_private_segment_fixed_size 0
		.amdhsa_kernarg_size 80
		.amdhsa_user_sgpr_count 6
		.amdhsa_user_sgpr_private_segment_buffer 1
		.amdhsa_user_sgpr_dispatch_ptr 0
		.amdhsa_user_sgpr_queue_ptr 0
		.amdhsa_user_sgpr_kernarg_segment_ptr 1
		.amdhsa_user_sgpr_dispatch_id 0
		.amdhsa_user_sgpr_flat_scratch_init 0
		.amdhsa_user_sgpr_private_segment_size 0
		.amdhsa_uses_dynamic_stack 0
		.amdhsa_system_sgpr_private_segment_wavefront_offset 0
		.amdhsa_system_sgpr_workgroup_id_x 1
		.amdhsa_system_sgpr_workgroup_id_y 0
		.amdhsa_system_sgpr_workgroup_id_z 0
		.amdhsa_system_sgpr_workgroup_info 0
		.amdhsa_system_vgpr_workitem_id 0
		.amdhsa_next_free_vgpr 24
		.amdhsa_next_free_sgpr 48
		.amdhsa_reserve_vcc 1
		.amdhsa_reserve_flat_scratch 0
		.amdhsa_float_round_mode_32 0
		.amdhsa_float_round_mode_16_64 0
		.amdhsa_float_denorm_mode_32 3
		.amdhsa_float_denorm_mode_16_64 3
		.amdhsa_dx10_clamp 1
		.amdhsa_ieee_mode 1
		.amdhsa_fp16_overflow 0
		.amdhsa_exception_fp_ieee_invalid_op 0
		.amdhsa_exception_fp_denorm_src 0
		.amdhsa_exception_fp_ieee_div_zero 0
		.amdhsa_exception_fp_ieee_overflow 0
		.amdhsa_exception_fp_ieee_underflow 0
		.amdhsa_exception_fp_ieee_inexact 0
		.amdhsa_exception_int_div_zero 0
	.end_amdhsa_kernel
	.section	.text._ZN9rocsparseL23check_matrix_csr_deviceILj256ELj64E21rocsparse_complex_numIdEllEEvT3_S3_T2_PKT1_PKS4_PKS3_SB_21rocsparse_index_base_22rocsparse_matrix_type_20rocsparse_fill_mode_23rocsparse_storage_mode_P22rocsparse_data_status_,"axG",@progbits,_ZN9rocsparseL23check_matrix_csr_deviceILj256ELj64E21rocsparse_complex_numIdEllEEvT3_S3_T2_PKT1_PKS4_PKS3_SB_21rocsparse_index_base_22rocsparse_matrix_type_20rocsparse_fill_mode_23rocsparse_storage_mode_P22rocsparse_data_status_,comdat
.Lfunc_end87:
	.size	_ZN9rocsparseL23check_matrix_csr_deviceILj256ELj64E21rocsparse_complex_numIdEllEEvT3_S3_T2_PKT1_PKS4_PKS3_SB_21rocsparse_index_base_22rocsparse_matrix_type_20rocsparse_fill_mode_23rocsparse_storage_mode_P22rocsparse_data_status_, .Lfunc_end87-_ZN9rocsparseL23check_matrix_csr_deviceILj256ELj64E21rocsparse_complex_numIdEllEEvT3_S3_T2_PKT1_PKS4_PKS3_SB_21rocsparse_index_base_22rocsparse_matrix_type_20rocsparse_fill_mode_23rocsparse_storage_mode_P22rocsparse_data_status_
                                        ; -- End function
	.set _ZN9rocsparseL23check_matrix_csr_deviceILj256ELj64E21rocsparse_complex_numIdEllEEvT3_S3_T2_PKT1_PKS4_PKS3_SB_21rocsparse_index_base_22rocsparse_matrix_type_20rocsparse_fill_mode_23rocsparse_storage_mode_P22rocsparse_data_status_.num_vgpr, 24
	.set _ZN9rocsparseL23check_matrix_csr_deviceILj256ELj64E21rocsparse_complex_numIdEllEEvT3_S3_T2_PKT1_PKS4_PKS3_SB_21rocsparse_index_base_22rocsparse_matrix_type_20rocsparse_fill_mode_23rocsparse_storage_mode_P22rocsparse_data_status_.num_agpr, 0
	.set _ZN9rocsparseL23check_matrix_csr_deviceILj256ELj64E21rocsparse_complex_numIdEllEEvT3_S3_T2_PKT1_PKS4_PKS3_SB_21rocsparse_index_base_22rocsparse_matrix_type_20rocsparse_fill_mode_23rocsparse_storage_mode_P22rocsparse_data_status_.numbered_sgpr, 48
	.set _ZN9rocsparseL23check_matrix_csr_deviceILj256ELj64E21rocsparse_complex_numIdEllEEvT3_S3_T2_PKT1_PKS4_PKS3_SB_21rocsparse_index_base_22rocsparse_matrix_type_20rocsparse_fill_mode_23rocsparse_storage_mode_P22rocsparse_data_status_.num_named_barrier, 0
	.set _ZN9rocsparseL23check_matrix_csr_deviceILj256ELj64E21rocsparse_complex_numIdEllEEvT3_S3_T2_PKT1_PKS4_PKS3_SB_21rocsparse_index_base_22rocsparse_matrix_type_20rocsparse_fill_mode_23rocsparse_storage_mode_P22rocsparse_data_status_.private_seg_size, 0
	.set _ZN9rocsparseL23check_matrix_csr_deviceILj256ELj64E21rocsparse_complex_numIdEllEEvT3_S3_T2_PKT1_PKS4_PKS3_SB_21rocsparse_index_base_22rocsparse_matrix_type_20rocsparse_fill_mode_23rocsparse_storage_mode_P22rocsparse_data_status_.uses_vcc, 1
	.set _ZN9rocsparseL23check_matrix_csr_deviceILj256ELj64E21rocsparse_complex_numIdEllEEvT3_S3_T2_PKT1_PKS4_PKS3_SB_21rocsparse_index_base_22rocsparse_matrix_type_20rocsparse_fill_mode_23rocsparse_storage_mode_P22rocsparse_data_status_.uses_flat_scratch, 0
	.set _ZN9rocsparseL23check_matrix_csr_deviceILj256ELj64E21rocsparse_complex_numIdEllEEvT3_S3_T2_PKT1_PKS4_PKS3_SB_21rocsparse_index_base_22rocsparse_matrix_type_20rocsparse_fill_mode_23rocsparse_storage_mode_P22rocsparse_data_status_.has_dyn_sized_stack, 0
	.set _ZN9rocsparseL23check_matrix_csr_deviceILj256ELj64E21rocsparse_complex_numIdEllEEvT3_S3_T2_PKT1_PKS4_PKS3_SB_21rocsparse_index_base_22rocsparse_matrix_type_20rocsparse_fill_mode_23rocsparse_storage_mode_P22rocsparse_data_status_.has_recursion, 0
	.set _ZN9rocsparseL23check_matrix_csr_deviceILj256ELj64E21rocsparse_complex_numIdEllEEvT3_S3_T2_PKT1_PKS4_PKS3_SB_21rocsparse_index_base_22rocsparse_matrix_type_20rocsparse_fill_mode_23rocsparse_storage_mode_P22rocsparse_data_status_.has_indirect_call, 0
	.section	.AMDGPU.csdata,"",@progbits
; Kernel info:
; codeLenInByte = 964
; TotalNumSgprs: 52
; NumVgprs: 24
; ScratchSize: 0
; MemoryBound: 0
; FloatMode: 240
; IeeeMode: 1
; LDSByteSize: 0 bytes/workgroup (compile time only)
; SGPRBlocks: 6
; VGPRBlocks: 5
; NumSGPRsForWavesPerEU: 52
; NumVGPRsForWavesPerEU: 24
; Occupancy: 10
; WaveLimiterHint : 0
; COMPUTE_PGM_RSRC2:SCRATCH_EN: 0
; COMPUTE_PGM_RSRC2:USER_SGPR: 6
; COMPUTE_PGM_RSRC2:TRAP_HANDLER: 0
; COMPUTE_PGM_RSRC2:TGID_X_EN: 1
; COMPUTE_PGM_RSRC2:TGID_Y_EN: 0
; COMPUTE_PGM_RSRC2:TGID_Z_EN: 0
; COMPUTE_PGM_RSRC2:TIDIG_COMP_CNT: 0
	.section	.text._ZN9rocsparseL23check_matrix_csr_deviceILj256ELj128E21rocsparse_complex_numIdEllEEvT3_S3_T2_PKT1_PKS4_PKS3_SB_21rocsparse_index_base_22rocsparse_matrix_type_20rocsparse_fill_mode_23rocsparse_storage_mode_P22rocsparse_data_status_,"axG",@progbits,_ZN9rocsparseL23check_matrix_csr_deviceILj256ELj128E21rocsparse_complex_numIdEllEEvT3_S3_T2_PKT1_PKS4_PKS3_SB_21rocsparse_index_base_22rocsparse_matrix_type_20rocsparse_fill_mode_23rocsparse_storage_mode_P22rocsparse_data_status_,comdat
	.globl	_ZN9rocsparseL23check_matrix_csr_deviceILj256ELj128E21rocsparse_complex_numIdEllEEvT3_S3_T2_PKT1_PKS4_PKS3_SB_21rocsparse_index_base_22rocsparse_matrix_type_20rocsparse_fill_mode_23rocsparse_storage_mode_P22rocsparse_data_status_ ; -- Begin function _ZN9rocsparseL23check_matrix_csr_deviceILj256ELj128E21rocsparse_complex_numIdEllEEvT3_S3_T2_PKT1_PKS4_PKS3_SB_21rocsparse_index_base_22rocsparse_matrix_type_20rocsparse_fill_mode_23rocsparse_storage_mode_P22rocsparse_data_status_
	.p2align	8
	.type	_ZN9rocsparseL23check_matrix_csr_deviceILj256ELj128E21rocsparse_complex_numIdEllEEvT3_S3_T2_PKT1_PKS4_PKS3_SB_21rocsparse_index_base_22rocsparse_matrix_type_20rocsparse_fill_mode_23rocsparse_storage_mode_P22rocsparse_data_status_,@function
_ZN9rocsparseL23check_matrix_csr_deviceILj256ELj128E21rocsparse_complex_numIdEllEEvT3_S3_T2_PKT1_PKS4_PKS3_SB_21rocsparse_index_base_22rocsparse_matrix_type_20rocsparse_fill_mode_23rocsparse_storage_mode_P22rocsparse_data_status_: ; @_ZN9rocsparseL23check_matrix_csr_deviceILj256ELj128E21rocsparse_complex_numIdEllEEvT3_S3_T2_PKT1_PKS4_PKS3_SB_21rocsparse_index_base_22rocsparse_matrix_type_20rocsparse_fill_mode_23rocsparse_storage_mode_P22rocsparse_data_status_
; %bb.0:
	s_load_dwordx4 s[16:19], s[4:5], 0x0
	v_lshl_or_b32 v1, s6, 8, v0
	v_lshrrev_b32_e32 v4, 7, v1
	v_mov_b32_e32 v5, 0
	s_waitcnt lgkmcnt(0)
	v_cmp_gt_i64_e32 vcc, s[16:17], v[4:5]
	s_and_saveexec_b64 s[0:1], vcc
	s_cbranch_execz .LBB88_31
; %bb.1:
	s_load_dwordx2 s[0:1], s[4:5], 0x20
	v_lshlrev_b32_e32 v1, 3, v4
	v_mov_b32_e32 v22, 3
	s_mov_b64 s[10:11], -1
	s_mov_b64 s[8:9], 0
	s_waitcnt lgkmcnt(0)
	global_load_dwordx4 v[10:13], v1, s[0:1]
	s_load_dwordx2 s[0:1], s[0:1], 0x0
	s_waitcnt lgkmcnt(0)
	v_mov_b32_e32 v1, s1
	s_waitcnt vmcnt(0)
	v_subrev_co_u32_e32 v6, vcc, s0, v10
	v_subb_co_u32_e32 v7, vcc, v11, v1, vcc
	v_subrev_co_u32_e32 v8, vcc, s0, v12
	v_subb_co_u32_e32 v9, vcc, v13, v1, vcc
	v_cmp_gt_i64_e64 s[0:1], 0, v[8:9]
	v_cmp_lt_i64_e64 s[2:3], v[12:13], v[10:11]
	v_cmp_lt_i64_e32 vcc, -1, v[6:7]
	s_or_b64 s[0:1], s[0:1], s[2:3]
	s_xor_b64 s[0:1], s[0:1], -1
	s_and_b64 s[0:1], vcc, s[0:1]
	s_and_saveexec_b64 s[6:7], s[0:1]
	s_cbranch_execz .LBB88_29
; %bb.2:
	v_and_b32_e32 v0, 0x7f, v0
	v_add_co_u32_e32 v10, vcc, v6, v0
	v_addc_co_u32_e32 v11, vcc, 0, v7, vcc
	v_cmp_lt_u64_e32 vcc, v[10:11], v[8:9]
	v_mov_b32_e32 v22, 3
	s_and_saveexec_b64 s[16:17], vcc
	s_cbranch_execz .LBB88_28
; %bb.3:
	s_load_dwordx8 s[8:15], s[4:5], 0x28
	s_load_dwordx2 s[0:1], s[4:5], 0x18
	v_lshlrev_b64 v[0:1], 3, v[10:11]
                                        ; implicit-def: $sgpr24_sgpr25
                                        ; implicit-def: $sgpr26_sgpr27
                                        ; implicit-def: $sgpr28_sgpr29
	v_add_co_u32_e32 v0, vcc, -8, v0
	v_addc_co_u32_e32 v1, vcc, -1, v1, vcc
	s_waitcnt lgkmcnt(0)
	v_mov_b32_e32 v2, s11
	v_add_co_u32_e32 v12, vcc, s10, v0
	v_addc_co_u32_e32 v13, vcc, v2, v1, vcc
	v_mov_b32_e32 v2, s9
	v_add_co_u32_e32 v14, vcc, s8, v0
	v_addc_co_u32_e32 v15, vcc, v2, v1, vcc
	v_lshlrev_b64 v[0:1], 4, v[10:11]
	s_cmp_lg_u32 s13, 0
	v_mov_b32_e32 v2, s1
	v_add_co_u32_e32 v0, vcc, s0, v0
	s_cselect_b64 s[20:21], -1, 0
	s_cmp_lg_u32 s14, 0
	v_addc_co_u32_e32 v1, vcc, v2, v1, vcc
	s_cselect_b64 s[22:23], -1, 0
	s_cmp_lg_u32 s15, 0
	v_add_co_u32_e32 v16, vcc, 8, v0
	s_mov_b32 s10, 0
	s_cselect_b64 s[14:15], -1, 0
	v_addc_co_u32_e32 v17, vcc, 0, v1, vcc
	s_mov_b32 s11, 0x7ff00000
	s_mov_b64 s[8:9], 0
	s_branch .LBB88_10
.LBB88_4:                               ;   in Loop: Header=BB88_10 Depth=1
	s_or_b64 exec, exec, s[0:1]
	s_orn2_b64 s[44:45], s[2:3], exec
	s_orn2_b64 s[0:1], s[40:41], exec
.LBB88_5:                               ;   in Loop: Header=BB88_10 Depth=1
	s_or_b64 exec, exec, s[42:43]
	s_orn2_b64 s[2:3], s[44:45], exec
	s_orn2_b64 s[0:1], s[0:1], exec
.LBB88_6:                               ;   in Loop: Header=BB88_10 Depth=1
	s_or_b64 exec, exec, s[38:39]
	s_orn2_b64 s[38:39], s[2:3], exec
	s_orn2_b64 s[2:3], s[0:1], exec
.LBB88_7:                               ;   in Loop: Header=BB88_10 Depth=1
	s_or_b64 exec, exec, s[36:37]
	s_orn2_b64 s[36:37], s[38:39], exec
	s_orn2_b64 s[0:1], s[2:3], exec
.LBB88_8:                               ;   in Loop: Header=BB88_10 Depth=1
	s_or_b64 exec, exec, s[34:35]
	s_andn2_b64 s[2:3], s[28:29], exec
	s_and_b64 s[28:29], s[36:37], exec
	s_or_b64 s[28:29], s[2:3], s[28:29]
	s_andn2_b64 s[2:3], s[26:27], exec
	s_and_b64 s[0:1], s[0:1], exec
	s_or_b64 s[26:27], s[2:3], s[0:1]
.LBB88_9:                               ;   in Loop: Header=BB88_10 Depth=1
	s_or_b64 exec, exec, s[30:31]
	s_and_b64 s[0:1], exec, s[26:27]
	s_or_b64 s[8:9], s[0:1], s[8:9]
	s_andn2_b64 s[0:1], s[24:25], exec
	s_and_b64 s[2:3], s[28:29], exec
	s_or_b64 s[24:25], s[0:1], s[2:3]
	s_andn2_b64 exec, exec, s[8:9]
	s_cbranch_execz .LBB88_27
.LBB88_10:                              ; =>This Inner Loop Header: Depth=1
	global_load_dwordx2 v[18:19], v[14:15], off offset:8
	v_mov_b32_e32 v22, 4
	s_or_b64 s[28:29], s[28:29], exec
	s_or_b64 s[26:27], s[26:27], exec
	s_waitcnt vmcnt(0)
	v_subrev_co_u32_e32 v20, vcc, s12, v18
	v_subbrev_co_u32_e32 v21, vcc, 0, v19, vcc
	v_cmp_lt_i64_e32 vcc, -1, v[20:21]
	v_cmp_gt_i64_e64 s[0:1], s[18:19], v[20:21]
	s_and_b64 s[0:1], vcc, s[0:1]
	s_and_saveexec_b64 s[30:31], s[0:1]
	s_cbranch_execz .LBB88_9
; %bb.11:                               ;   in Loop: Header=BB88_10 Depth=1
	v_cmp_le_i64_e64 s[40:41], v[10:11], v[6:7]
	v_cmp_gt_i64_e32 vcc, v[10:11], v[6:7]
	v_mov_b32_e32 v22, 4
	s_mov_b64 s[2:3], s[40:41]
	s_and_saveexec_b64 s[34:35], vcc
	s_cbranch_execz .LBB88_13
; %bb.12:                               ;   in Loop: Header=BB88_10 Depth=1
	global_load_dwordx4 v[0:3], v[12:13], off
	s_waitcnt vmcnt(0)
	v_subrev_co_u32_e32 v22, vcc, s12, v0
	v_subbrev_co_u32_e32 v23, vcc, 0, v1, vcc
	v_cmp_lt_i64_e64 s[0:1], -1, v[22:23]
	v_cmp_gt_i64_e64 s[2:3], s[18:19], v[22:23]
	v_cmp_ne_u64_e32 vcc, v[2:3], v[0:1]
	s_and_b64 s[0:1], s[0:1], s[2:3]
	s_xor_b64 s[0:1], s[0:1], -1
	s_or_b64 s[0:1], vcc, s[0:1]
	s_andn2_b64 s[2:3], s[40:41], exec
	s_and_b64 s[0:1], s[0:1], exec
	v_mov_b32_e32 v22, 5
	s_or_b64 s[2:3], s[2:3], s[0:1]
.LBB88_13:                              ;   in Loop: Header=BB88_10 Depth=1
	s_or_b64 exec, exec, s[34:35]
	s_mov_b64 s[0:1], -1
	s_mov_b64 s[36:37], -1
	s_and_saveexec_b64 s[34:35], s[2:3]
	s_cbranch_execz .LBB88_8
; %bb.14:                               ;   in Loop: Header=BB88_10 Depth=1
	global_load_dwordx4 v[0:3], v[16:17], off offset:-8
	v_mov_b32_e32 v22, 1
	s_mov_b64 s[2:3], -1
	s_mov_b64 s[38:39], -1
	s_waitcnt vmcnt(0)
	v_cmp_neq_f64_e32 vcc, s[10:11], v[0:1]
	v_cmp_neq_f64_e64 s[0:1], s[10:11], v[2:3]
	s_and_b64 s[0:1], vcc, s[0:1]
	s_and_saveexec_b64 s[36:37], s[0:1]
	s_cbranch_execz .LBB88_7
; %bb.15:                               ;   in Loop: Header=BB88_10 Depth=1
	v_cmp_o_f64_e32 vcc, v[0:1], v[2:3]
	v_mov_b32_e32 v22, 2
	s_mov_b64 s[0:1], -1
	s_and_saveexec_b64 s[38:39], vcc
	s_cbranch_execz .LBB88_6
; %bb.16:                               ;   in Loop: Header=BB88_10 Depth=1
	s_and_b64 vcc, exec, s[20:21]
	s_cbranch_vccz .LBB88_19
; %bb.17:                               ;   in Loop: Header=BB88_10 Depth=1
	s_and_b64 vcc, exec, s[22:23]
	s_cbranch_vccz .LBB88_20
; %bb.18:                               ;   in Loop: Header=BB88_10 Depth=1
	v_cmp_ge_i64_e32 vcc, v[20:21], v[4:5]
	s_mov_b32 s13, 7
	s_and_b64 s[2:3], vcc, exec
	s_cbranch_execz .LBB88_21
	s_branch .LBB88_22
.LBB88_19:                              ;   in Loop: Header=BB88_10 Depth=1
	s_mov_b32 s13, 2
	s_branch .LBB88_22
.LBB88_20:                              ;   in Loop: Header=BB88_10 Depth=1
	s_mov_b64 s[2:3], 0
	s_mov_b32 s13, 2
.LBB88_21:                              ;   in Loop: Header=BB88_10 Depth=1
	v_cmp_le_i64_e32 vcc, v[20:21], v[4:5]
	s_andn2_b64 s[2:3], s[2:3], exec
	s_and_b64 s[42:43], vcc, exec
	s_mov_b32 s13, 7
	s_or_b64 s[2:3], s[2:3], s[42:43]
.LBB88_22:                              ;   in Loop: Header=BB88_10 Depth=1
	v_mov_b32_e32 v22, s13
	s_mov_b64 s[44:45], -1
	s_and_saveexec_b64 s[42:43], s[2:3]
	s_cbranch_execz .LBB88_5
; %bb.23:                               ;   in Loop: Header=BB88_10 Depth=1
	s_nor_b64 s[0:1], s[14:15], s[40:41]
	s_mov_b64 s[40:41], -1
	v_mov_b32_e32 v22, s13
	s_mov_b64 s[46:47], -1
	s_and_saveexec_b64 s[44:45], s[0:1]
	s_cbranch_execz .LBB88_25
; %bb.24:                               ;   in Loop: Header=BB88_10 Depth=1
	global_load_dwordx2 v[0:1], v[14:15], off
	v_mov_b32_e32 v22, 6
	s_waitcnt vmcnt(0)
	v_subrev_co_u32_e32 v2, vcc, s12, v0
	v_subbrev_co_u32_e32 v3, vcc, 0, v1, vcc
	v_cmp_lt_i64_e32 vcc, -1, v[2:3]
	v_cmp_gt_i64_e64 s[0:1], s[18:19], v[2:3]
	v_cmp_gt_i64_e64 s[2:3], v[18:19], v[0:1]
	s_and_b64 s[0:1], vcc, s[0:1]
	s_xor_b64 s[0:1], s[0:1], -1
	s_or_b64 s[0:1], s[2:3], s[0:1]
	s_orn2_b64 s[46:47], s[0:1], exec
.LBB88_25:                              ;   in Loop: Header=BB88_10 Depth=1
	s_or_b64 exec, exec, s[44:45]
	s_mov_b64 s[2:3], -1
	s_and_saveexec_b64 s[0:1], s[46:47]
	s_cbranch_execz .LBB88_4
; %bb.26:                               ;   in Loop: Header=BB88_10 Depth=1
	v_add_co_u32_e32 v10, vcc, 0x80, v10
	v_addc_co_u32_e32 v11, vcc, 0, v11, vcc
	v_add_co_u32_e32 v12, vcc, 0x400, v12
	v_addc_co_u32_e32 v13, vcc, 0, v13, vcc
	;; [unrolled: 2-line block ×4, first 2 shown]
	v_cmp_ge_i64_e32 vcc, v[10:11], v[8:9]
	s_xor_b64 s[2:3], exec, -1
	s_orn2_b64 s[40:41], vcc, exec
	s_branch .LBB88_4
.LBB88_27:
	s_or_b64 exec, exec, s[8:9]
	s_and_b64 s[8:9], s[24:25], exec
.LBB88_28:
	s_or_b64 exec, exec, s[16:17]
	s_orn2_b64 s[10:11], s[8:9], exec
.LBB88_29:
	s_or_b64 exec, exec, s[6:7]
	s_and_b64 exec, exec, s[10:11]
	s_cbranch_execz .LBB88_31
; %bb.30:
	s_load_dwordx2 s[0:1], s[4:5], 0x48
	v_mov_b32_e32 v0, 0
	s_waitcnt lgkmcnt(0)
	global_store_dword v0, v22, s[0:1]
.LBB88_31:
	s_endpgm
	.section	.rodata,"a",@progbits
	.p2align	6, 0x0
	.amdhsa_kernel _ZN9rocsparseL23check_matrix_csr_deviceILj256ELj128E21rocsparse_complex_numIdEllEEvT3_S3_T2_PKT1_PKS4_PKS3_SB_21rocsparse_index_base_22rocsparse_matrix_type_20rocsparse_fill_mode_23rocsparse_storage_mode_P22rocsparse_data_status_
		.amdhsa_group_segment_fixed_size 0
		.amdhsa_private_segment_fixed_size 0
		.amdhsa_kernarg_size 80
		.amdhsa_user_sgpr_count 6
		.amdhsa_user_sgpr_private_segment_buffer 1
		.amdhsa_user_sgpr_dispatch_ptr 0
		.amdhsa_user_sgpr_queue_ptr 0
		.amdhsa_user_sgpr_kernarg_segment_ptr 1
		.amdhsa_user_sgpr_dispatch_id 0
		.amdhsa_user_sgpr_flat_scratch_init 0
		.amdhsa_user_sgpr_private_segment_size 0
		.amdhsa_uses_dynamic_stack 0
		.amdhsa_system_sgpr_private_segment_wavefront_offset 0
		.amdhsa_system_sgpr_workgroup_id_x 1
		.amdhsa_system_sgpr_workgroup_id_y 0
		.amdhsa_system_sgpr_workgroup_id_z 0
		.amdhsa_system_sgpr_workgroup_info 0
		.amdhsa_system_vgpr_workitem_id 0
		.amdhsa_next_free_vgpr 24
		.amdhsa_next_free_sgpr 48
		.amdhsa_reserve_vcc 1
		.amdhsa_reserve_flat_scratch 0
		.amdhsa_float_round_mode_32 0
		.amdhsa_float_round_mode_16_64 0
		.amdhsa_float_denorm_mode_32 3
		.amdhsa_float_denorm_mode_16_64 3
		.amdhsa_dx10_clamp 1
		.amdhsa_ieee_mode 1
		.amdhsa_fp16_overflow 0
		.amdhsa_exception_fp_ieee_invalid_op 0
		.amdhsa_exception_fp_denorm_src 0
		.amdhsa_exception_fp_ieee_div_zero 0
		.amdhsa_exception_fp_ieee_overflow 0
		.amdhsa_exception_fp_ieee_underflow 0
		.amdhsa_exception_fp_ieee_inexact 0
		.amdhsa_exception_int_div_zero 0
	.end_amdhsa_kernel
	.section	.text._ZN9rocsparseL23check_matrix_csr_deviceILj256ELj128E21rocsparse_complex_numIdEllEEvT3_S3_T2_PKT1_PKS4_PKS3_SB_21rocsparse_index_base_22rocsparse_matrix_type_20rocsparse_fill_mode_23rocsparse_storage_mode_P22rocsparse_data_status_,"axG",@progbits,_ZN9rocsparseL23check_matrix_csr_deviceILj256ELj128E21rocsparse_complex_numIdEllEEvT3_S3_T2_PKT1_PKS4_PKS3_SB_21rocsparse_index_base_22rocsparse_matrix_type_20rocsparse_fill_mode_23rocsparse_storage_mode_P22rocsparse_data_status_,comdat
.Lfunc_end88:
	.size	_ZN9rocsparseL23check_matrix_csr_deviceILj256ELj128E21rocsparse_complex_numIdEllEEvT3_S3_T2_PKT1_PKS4_PKS3_SB_21rocsparse_index_base_22rocsparse_matrix_type_20rocsparse_fill_mode_23rocsparse_storage_mode_P22rocsparse_data_status_, .Lfunc_end88-_ZN9rocsparseL23check_matrix_csr_deviceILj256ELj128E21rocsparse_complex_numIdEllEEvT3_S3_T2_PKT1_PKS4_PKS3_SB_21rocsparse_index_base_22rocsparse_matrix_type_20rocsparse_fill_mode_23rocsparse_storage_mode_P22rocsparse_data_status_
                                        ; -- End function
	.set _ZN9rocsparseL23check_matrix_csr_deviceILj256ELj128E21rocsparse_complex_numIdEllEEvT3_S3_T2_PKT1_PKS4_PKS3_SB_21rocsparse_index_base_22rocsparse_matrix_type_20rocsparse_fill_mode_23rocsparse_storage_mode_P22rocsparse_data_status_.num_vgpr, 24
	.set _ZN9rocsparseL23check_matrix_csr_deviceILj256ELj128E21rocsparse_complex_numIdEllEEvT3_S3_T2_PKT1_PKS4_PKS3_SB_21rocsparse_index_base_22rocsparse_matrix_type_20rocsparse_fill_mode_23rocsparse_storage_mode_P22rocsparse_data_status_.num_agpr, 0
	.set _ZN9rocsparseL23check_matrix_csr_deviceILj256ELj128E21rocsparse_complex_numIdEllEEvT3_S3_T2_PKT1_PKS4_PKS3_SB_21rocsparse_index_base_22rocsparse_matrix_type_20rocsparse_fill_mode_23rocsparse_storage_mode_P22rocsparse_data_status_.numbered_sgpr, 48
	.set _ZN9rocsparseL23check_matrix_csr_deviceILj256ELj128E21rocsparse_complex_numIdEllEEvT3_S3_T2_PKT1_PKS4_PKS3_SB_21rocsparse_index_base_22rocsparse_matrix_type_20rocsparse_fill_mode_23rocsparse_storage_mode_P22rocsparse_data_status_.num_named_barrier, 0
	.set _ZN9rocsparseL23check_matrix_csr_deviceILj256ELj128E21rocsparse_complex_numIdEllEEvT3_S3_T2_PKT1_PKS4_PKS3_SB_21rocsparse_index_base_22rocsparse_matrix_type_20rocsparse_fill_mode_23rocsparse_storage_mode_P22rocsparse_data_status_.private_seg_size, 0
	.set _ZN9rocsparseL23check_matrix_csr_deviceILj256ELj128E21rocsparse_complex_numIdEllEEvT3_S3_T2_PKT1_PKS4_PKS3_SB_21rocsparse_index_base_22rocsparse_matrix_type_20rocsparse_fill_mode_23rocsparse_storage_mode_P22rocsparse_data_status_.uses_vcc, 1
	.set _ZN9rocsparseL23check_matrix_csr_deviceILj256ELj128E21rocsparse_complex_numIdEllEEvT3_S3_T2_PKT1_PKS4_PKS3_SB_21rocsparse_index_base_22rocsparse_matrix_type_20rocsparse_fill_mode_23rocsparse_storage_mode_P22rocsparse_data_status_.uses_flat_scratch, 0
	.set _ZN9rocsparseL23check_matrix_csr_deviceILj256ELj128E21rocsparse_complex_numIdEllEEvT3_S3_T2_PKT1_PKS4_PKS3_SB_21rocsparse_index_base_22rocsparse_matrix_type_20rocsparse_fill_mode_23rocsparse_storage_mode_P22rocsparse_data_status_.has_dyn_sized_stack, 0
	.set _ZN9rocsparseL23check_matrix_csr_deviceILj256ELj128E21rocsparse_complex_numIdEllEEvT3_S3_T2_PKT1_PKS4_PKS3_SB_21rocsparse_index_base_22rocsparse_matrix_type_20rocsparse_fill_mode_23rocsparse_storage_mode_P22rocsparse_data_status_.has_recursion, 0
	.set _ZN9rocsparseL23check_matrix_csr_deviceILj256ELj128E21rocsparse_complex_numIdEllEEvT3_S3_T2_PKT1_PKS4_PKS3_SB_21rocsparse_index_base_22rocsparse_matrix_type_20rocsparse_fill_mode_23rocsparse_storage_mode_P22rocsparse_data_status_.has_indirect_call, 0
	.section	.AMDGPU.csdata,"",@progbits
; Kernel info:
; codeLenInByte = 972
; TotalNumSgprs: 52
; NumVgprs: 24
; ScratchSize: 0
; MemoryBound: 0
; FloatMode: 240
; IeeeMode: 1
; LDSByteSize: 0 bytes/workgroup (compile time only)
; SGPRBlocks: 6
; VGPRBlocks: 5
; NumSGPRsForWavesPerEU: 52
; NumVGPRsForWavesPerEU: 24
; Occupancy: 10
; WaveLimiterHint : 0
; COMPUTE_PGM_RSRC2:SCRATCH_EN: 0
; COMPUTE_PGM_RSRC2:USER_SGPR: 6
; COMPUTE_PGM_RSRC2:TRAP_HANDLER: 0
; COMPUTE_PGM_RSRC2:TGID_X_EN: 1
; COMPUTE_PGM_RSRC2:TGID_Y_EN: 0
; COMPUTE_PGM_RSRC2:TGID_Z_EN: 0
; COMPUTE_PGM_RSRC2:TIDIG_COMP_CNT: 0
	.section	.text._ZN9rocsparseL23check_matrix_csr_deviceILj256ELj256E21rocsparse_complex_numIdEllEEvT3_S3_T2_PKT1_PKS4_PKS3_SB_21rocsparse_index_base_22rocsparse_matrix_type_20rocsparse_fill_mode_23rocsparse_storage_mode_P22rocsparse_data_status_,"axG",@progbits,_ZN9rocsparseL23check_matrix_csr_deviceILj256ELj256E21rocsparse_complex_numIdEllEEvT3_S3_T2_PKT1_PKS4_PKS3_SB_21rocsparse_index_base_22rocsparse_matrix_type_20rocsparse_fill_mode_23rocsparse_storage_mode_P22rocsparse_data_status_,comdat
	.globl	_ZN9rocsparseL23check_matrix_csr_deviceILj256ELj256E21rocsparse_complex_numIdEllEEvT3_S3_T2_PKT1_PKS4_PKS3_SB_21rocsparse_index_base_22rocsparse_matrix_type_20rocsparse_fill_mode_23rocsparse_storage_mode_P22rocsparse_data_status_ ; -- Begin function _ZN9rocsparseL23check_matrix_csr_deviceILj256ELj256E21rocsparse_complex_numIdEllEEvT3_S3_T2_PKT1_PKS4_PKS3_SB_21rocsparse_index_base_22rocsparse_matrix_type_20rocsparse_fill_mode_23rocsparse_storage_mode_P22rocsparse_data_status_
	.p2align	8
	.type	_ZN9rocsparseL23check_matrix_csr_deviceILj256ELj256E21rocsparse_complex_numIdEllEEvT3_S3_T2_PKT1_PKS4_PKS3_SB_21rocsparse_index_base_22rocsparse_matrix_type_20rocsparse_fill_mode_23rocsparse_storage_mode_P22rocsparse_data_status_,@function
_ZN9rocsparseL23check_matrix_csr_deviceILj256ELj256E21rocsparse_complex_numIdEllEEvT3_S3_T2_PKT1_PKS4_PKS3_SB_21rocsparse_index_base_22rocsparse_matrix_type_20rocsparse_fill_mode_23rocsparse_storage_mode_P22rocsparse_data_status_: ; @_ZN9rocsparseL23check_matrix_csr_deviceILj256ELj256E21rocsparse_complex_numIdEllEEvT3_S3_T2_PKT1_PKS4_PKS3_SB_21rocsparse_index_base_22rocsparse_matrix_type_20rocsparse_fill_mode_23rocsparse_storage_mode_P22rocsparse_data_status_
; %bb.0:
	s_load_dwordx4 s[16:19], s[4:5], 0x0
	s_and_b32 s6, s6, 0xffffff
	s_mov_b32 s7, 0
	v_mov_b32_e32 v1, s6
	v_mov_b32_e32 v2, s7
	s_waitcnt lgkmcnt(0)
	v_cmp_gt_i64_e32 vcc, s[16:17], v[1:2]
	s_and_saveexec_b64 s[0:1], vcc
	s_cbranch_execz .LBB89_31
; %bb.1:
	s_load_dwordx2 s[0:1], s[4:5], 0x20
	v_mov_b32_e32 v1, s6
	v_lshlrev_b32_e32 v1, 3, v1
	v_mov_b32_e32 v20, 3
	s_mov_b64 s[10:11], -1
	s_waitcnt lgkmcnt(0)
	global_load_dwordx4 v[8:11], v1, s[0:1]
	s_load_dwordx2 s[0:1], s[0:1], 0x0
	s_mov_b64 s[8:9], 0
	v_mov_b32_e32 v2, s7
	s_waitcnt lgkmcnt(0)
	v_mov_b32_e32 v1, s1
	s_waitcnt vmcnt(0)
	v_subrev_co_u32_e32 v4, vcc, s0, v8
	v_subb_co_u32_e32 v5, vcc, v9, v1, vcc
	v_subrev_co_u32_e32 v6, vcc, s0, v10
	v_subb_co_u32_e32 v7, vcc, v11, v1, vcc
	v_cmp_gt_i64_e64 s[0:1], 0, v[6:7]
	v_cmp_lt_i64_e64 s[2:3], v[10:11], v[8:9]
	v_cmp_lt_i64_e32 vcc, -1, v[4:5]
	s_or_b64 s[0:1], s[0:1], s[2:3]
	s_xor_b64 s[0:1], s[0:1], -1
	s_and_b64 s[0:1], vcc, s[0:1]
	s_and_saveexec_b64 s[16:17], s[0:1]
	s_cbranch_execz .LBB89_29
; %bb.2:
	v_add_co_u32_e32 v8, vcc, v4, v0
	v_addc_co_u32_e32 v9, vcc, 0, v5, vcc
	v_cmp_lt_u64_e32 vcc, v[8:9], v[6:7]
	v_mov_b32_e32 v20, 3
	s_and_saveexec_b64 s[20:21], vcc
	s_cbranch_execz .LBB89_28
; %bb.3:
	s_load_dwordx8 s[8:15], s[4:5], 0x28
	s_load_dwordx2 s[0:1], s[4:5], 0x18
	v_lshlrev_b64 v[0:1], 3, v[8:9]
                                        ; implicit-def: $sgpr26_sgpr27
                                        ; implicit-def: $sgpr28_sgpr29
                                        ; implicit-def: $sgpr30_sgpr31
	v_add_co_u32_e32 v0, vcc, -8, v0
	v_addc_co_u32_e32 v1, vcc, -1, v1, vcc
	s_waitcnt lgkmcnt(0)
	v_mov_b32_e32 v2, s11
	v_add_co_u32_e32 v10, vcc, s10, v0
	v_addc_co_u32_e32 v11, vcc, v2, v1, vcc
	v_mov_b32_e32 v2, s9
	v_add_co_u32_e32 v12, vcc, s8, v0
	v_addc_co_u32_e32 v13, vcc, v2, v1, vcc
	v_lshlrev_b64 v[0:1], 4, v[8:9]
	s_cmp_lg_u32 s13, 0
	v_mov_b32_e32 v2, s1
	v_add_co_u32_e32 v0, vcc, s0, v0
	s_cselect_b64 s[22:23], -1, 0
	s_cmp_lg_u32 s14, 0
	v_addc_co_u32_e32 v1, vcc, v2, v1, vcc
	s_cselect_b64 s[24:25], -1, 0
	s_cmp_lg_u32 s15, 0
	v_add_co_u32_e32 v14, vcc, 8, v0
	s_mov_b32 s10, 0
	s_cselect_b64 s[14:15], -1, 0
	v_addc_co_u32_e32 v15, vcc, 0, v1, vcc
	s_mov_b32 s11, 0x7ff00000
	s_mov_b64 s[8:9], 0
	s_branch .LBB89_10
.LBB89_4:                               ;   in Loop: Header=BB89_10 Depth=1
	s_or_b64 exec, exec, s[0:1]
	s_orn2_b64 s[46:47], s[2:3], exec
	s_orn2_b64 s[0:1], s[42:43], exec
.LBB89_5:                               ;   in Loop: Header=BB89_10 Depth=1
	s_or_b64 exec, exec, s[44:45]
	s_orn2_b64 s[2:3], s[46:47], exec
	s_orn2_b64 s[0:1], s[0:1], exec
.LBB89_6:                               ;   in Loop: Header=BB89_10 Depth=1
	s_or_b64 exec, exec, s[40:41]
	s_orn2_b64 s[40:41], s[2:3], exec
	s_orn2_b64 s[2:3], s[0:1], exec
.LBB89_7:                               ;   in Loop: Header=BB89_10 Depth=1
	s_or_b64 exec, exec, s[38:39]
	s_orn2_b64 s[38:39], s[40:41], exec
	s_orn2_b64 s[0:1], s[2:3], exec
.LBB89_8:                               ;   in Loop: Header=BB89_10 Depth=1
	s_or_b64 exec, exec, s[36:37]
	s_andn2_b64 s[2:3], s[30:31], exec
	s_and_b64 s[30:31], s[38:39], exec
	s_or_b64 s[30:31], s[2:3], s[30:31]
	s_andn2_b64 s[2:3], s[28:29], exec
	s_and_b64 s[0:1], s[0:1], exec
	s_or_b64 s[28:29], s[2:3], s[0:1]
.LBB89_9:                               ;   in Loop: Header=BB89_10 Depth=1
	s_or_b64 exec, exec, s[34:35]
	s_and_b64 s[0:1], exec, s[28:29]
	s_or_b64 s[8:9], s[0:1], s[8:9]
	s_andn2_b64 s[0:1], s[26:27], exec
	s_and_b64 s[2:3], s[30:31], exec
	s_or_b64 s[26:27], s[0:1], s[2:3]
	s_andn2_b64 exec, exec, s[8:9]
	s_cbranch_execz .LBB89_27
.LBB89_10:                              ; =>This Inner Loop Header: Depth=1
	global_load_dwordx2 v[16:17], v[12:13], off offset:8
	v_mov_b32_e32 v20, 4
	s_or_b64 s[30:31], s[30:31], exec
	s_or_b64 s[28:29], s[28:29], exec
	s_waitcnt vmcnt(0)
	v_subrev_co_u32_e32 v18, vcc, s12, v16
	v_subbrev_co_u32_e32 v19, vcc, 0, v17, vcc
	v_cmp_lt_i64_e32 vcc, -1, v[18:19]
	v_cmp_gt_i64_e64 s[0:1], s[18:19], v[18:19]
	s_and_b64 s[0:1], vcc, s[0:1]
	s_and_saveexec_b64 s[34:35], s[0:1]
	s_cbranch_execz .LBB89_9
; %bb.11:                               ;   in Loop: Header=BB89_10 Depth=1
	v_cmp_le_i64_e64 s[42:43], v[8:9], v[4:5]
	v_cmp_gt_i64_e32 vcc, v[8:9], v[4:5]
	v_mov_b32_e32 v20, 4
	s_mov_b64 s[2:3], s[42:43]
	s_and_saveexec_b64 s[36:37], vcc
	s_cbranch_execz .LBB89_13
; %bb.12:                               ;   in Loop: Header=BB89_10 Depth=1
	global_load_dwordx4 v[0:3], v[10:11], off
	v_mov_b32_e32 v20, 5
	s_waitcnt vmcnt(0)
	v_subrev_co_u32_e32 v21, vcc, s12, v0
	v_subbrev_co_u32_e32 v22, vcc, 0, v1, vcc
	v_cmp_lt_i64_e32 vcc, -1, v[21:22]
	v_cmp_gt_i64_e64 s[0:1], s[18:19], v[21:22]
	v_cmp_ne_u64_e64 s[2:3], v[2:3], v[0:1]
	s_and_b64 s[0:1], vcc, s[0:1]
	s_xor_b64 s[0:1], s[0:1], -1
	s_or_b64 s[0:1], s[2:3], s[0:1]
	s_andn2_b64 s[2:3], s[42:43], exec
	s_and_b64 s[0:1], s[0:1], exec
	s_or_b64 s[2:3], s[2:3], s[0:1]
.LBB89_13:                              ;   in Loop: Header=BB89_10 Depth=1
	s_or_b64 exec, exec, s[36:37]
	s_mov_b64 s[0:1], -1
	s_mov_b64 s[38:39], -1
	s_and_saveexec_b64 s[36:37], s[2:3]
	s_cbranch_execz .LBB89_8
; %bb.14:                               ;   in Loop: Header=BB89_10 Depth=1
	global_load_dwordx4 v[0:3], v[14:15], off offset:-8
	v_mov_b32_e32 v20, 1
	s_mov_b64 s[2:3], -1
	s_mov_b64 s[40:41], -1
	s_waitcnt vmcnt(0)
	v_cmp_neq_f64_e32 vcc, s[10:11], v[0:1]
	v_cmp_neq_f64_e64 s[0:1], s[10:11], v[2:3]
	s_and_b64 s[0:1], vcc, s[0:1]
	s_and_saveexec_b64 s[38:39], s[0:1]
	s_cbranch_execz .LBB89_7
; %bb.15:                               ;   in Loop: Header=BB89_10 Depth=1
	v_cmp_o_f64_e32 vcc, v[0:1], v[2:3]
	v_mov_b32_e32 v20, 2
	s_mov_b64 s[0:1], -1
	s_and_saveexec_b64 s[40:41], vcc
	s_cbranch_execz .LBB89_6
; %bb.16:                               ;   in Loop: Header=BB89_10 Depth=1
	s_and_b64 vcc, exec, s[22:23]
	s_cbranch_vccz .LBB89_19
; %bb.17:                               ;   in Loop: Header=BB89_10 Depth=1
	s_and_b64 vcc, exec, s[24:25]
	s_cbranch_vccz .LBB89_20
; %bb.18:                               ;   in Loop: Header=BB89_10 Depth=1
	v_cmp_le_i64_e32 vcc, s[6:7], v[18:19]
	s_mov_b32 s13, 7
	s_and_b64 s[2:3], vcc, exec
	s_cbranch_execz .LBB89_21
	s_branch .LBB89_22
.LBB89_19:                              ;   in Loop: Header=BB89_10 Depth=1
	s_mov_b32 s13, 2
	s_branch .LBB89_22
.LBB89_20:                              ;   in Loop: Header=BB89_10 Depth=1
	s_mov_b64 s[2:3], 0
	s_mov_b32 s13, 2
.LBB89_21:                              ;   in Loop: Header=BB89_10 Depth=1
	v_cmp_ge_i64_e32 vcc, s[6:7], v[18:19]
	s_andn2_b64 s[2:3], s[2:3], exec
	s_and_b64 s[44:45], vcc, exec
	s_mov_b32 s13, 7
	s_or_b64 s[2:3], s[2:3], s[44:45]
.LBB89_22:                              ;   in Loop: Header=BB89_10 Depth=1
	v_mov_b32_e32 v20, s13
	s_mov_b64 s[46:47], -1
	s_and_saveexec_b64 s[44:45], s[2:3]
	s_cbranch_execz .LBB89_5
; %bb.23:                               ;   in Loop: Header=BB89_10 Depth=1
	s_nor_b64 s[0:1], s[14:15], s[42:43]
	s_mov_b64 s[42:43], -1
	v_mov_b32_e32 v20, s13
	s_mov_b64 s[48:49], -1
	s_and_saveexec_b64 s[46:47], s[0:1]
	s_cbranch_execz .LBB89_25
; %bb.24:                               ;   in Loop: Header=BB89_10 Depth=1
	global_load_dwordx2 v[0:1], v[12:13], off
	v_mov_b32_e32 v20, 6
	s_waitcnt vmcnt(0)
	v_subrev_co_u32_e32 v2, vcc, s12, v0
	v_subbrev_co_u32_e32 v3, vcc, 0, v1, vcc
	v_cmp_lt_i64_e32 vcc, -1, v[2:3]
	v_cmp_gt_i64_e64 s[0:1], s[18:19], v[2:3]
	v_cmp_gt_i64_e64 s[2:3], v[16:17], v[0:1]
	s_and_b64 s[0:1], vcc, s[0:1]
	s_xor_b64 s[0:1], s[0:1], -1
	s_or_b64 s[0:1], s[2:3], s[0:1]
	s_orn2_b64 s[48:49], s[0:1], exec
.LBB89_25:                              ;   in Loop: Header=BB89_10 Depth=1
	s_or_b64 exec, exec, s[46:47]
	s_mov_b64 s[2:3], -1
	s_and_saveexec_b64 s[0:1], s[48:49]
	s_cbranch_execz .LBB89_4
; %bb.26:                               ;   in Loop: Header=BB89_10 Depth=1
	v_add_co_u32_e32 v8, vcc, 0x100, v8
	v_addc_co_u32_e32 v9, vcc, 0, v9, vcc
	v_add_co_u32_e32 v10, vcc, 0x800, v10
	v_addc_co_u32_e32 v11, vcc, 0, v11, vcc
	;; [unrolled: 2-line block ×4, first 2 shown]
	v_cmp_ge_i64_e32 vcc, v[8:9], v[6:7]
	s_xor_b64 s[2:3], exec, -1
	s_orn2_b64 s[42:43], vcc, exec
	s_branch .LBB89_4
.LBB89_27:
	s_or_b64 exec, exec, s[8:9]
	s_and_b64 s[8:9], s[26:27], exec
.LBB89_28:
	s_or_b64 exec, exec, s[20:21]
	s_orn2_b64 s[10:11], s[8:9], exec
.LBB89_29:
	s_or_b64 exec, exec, s[16:17]
	s_and_b64 exec, exec, s[10:11]
	s_cbranch_execz .LBB89_31
; %bb.30:
	s_load_dwordx2 s[0:1], s[4:5], 0x48
	v_mov_b32_e32 v0, 0
	s_waitcnt lgkmcnt(0)
	global_store_dword v0, v20, s[0:1]
.LBB89_31:
	s_endpgm
	.section	.rodata,"a",@progbits
	.p2align	6, 0x0
	.amdhsa_kernel _ZN9rocsparseL23check_matrix_csr_deviceILj256ELj256E21rocsparse_complex_numIdEllEEvT3_S3_T2_PKT1_PKS4_PKS3_SB_21rocsparse_index_base_22rocsparse_matrix_type_20rocsparse_fill_mode_23rocsparse_storage_mode_P22rocsparse_data_status_
		.amdhsa_group_segment_fixed_size 0
		.amdhsa_private_segment_fixed_size 0
		.amdhsa_kernarg_size 80
		.amdhsa_user_sgpr_count 6
		.amdhsa_user_sgpr_private_segment_buffer 1
		.amdhsa_user_sgpr_dispatch_ptr 0
		.amdhsa_user_sgpr_queue_ptr 0
		.amdhsa_user_sgpr_kernarg_segment_ptr 1
		.amdhsa_user_sgpr_dispatch_id 0
		.amdhsa_user_sgpr_flat_scratch_init 0
		.amdhsa_user_sgpr_private_segment_size 0
		.amdhsa_uses_dynamic_stack 0
		.amdhsa_system_sgpr_private_segment_wavefront_offset 0
		.amdhsa_system_sgpr_workgroup_id_x 1
		.amdhsa_system_sgpr_workgroup_id_y 0
		.amdhsa_system_sgpr_workgroup_id_z 0
		.amdhsa_system_sgpr_workgroup_info 0
		.amdhsa_system_vgpr_workitem_id 0
		.amdhsa_next_free_vgpr 23
		.amdhsa_next_free_sgpr 50
		.amdhsa_reserve_vcc 1
		.amdhsa_reserve_flat_scratch 0
		.amdhsa_float_round_mode_32 0
		.amdhsa_float_round_mode_16_64 0
		.amdhsa_float_denorm_mode_32 3
		.amdhsa_float_denorm_mode_16_64 3
		.amdhsa_dx10_clamp 1
		.amdhsa_ieee_mode 1
		.amdhsa_fp16_overflow 0
		.amdhsa_exception_fp_ieee_invalid_op 0
		.amdhsa_exception_fp_denorm_src 0
		.amdhsa_exception_fp_ieee_div_zero 0
		.amdhsa_exception_fp_ieee_overflow 0
		.amdhsa_exception_fp_ieee_underflow 0
		.amdhsa_exception_fp_ieee_inexact 0
		.amdhsa_exception_int_div_zero 0
	.end_amdhsa_kernel
	.section	.text._ZN9rocsparseL23check_matrix_csr_deviceILj256ELj256E21rocsparse_complex_numIdEllEEvT3_S3_T2_PKT1_PKS4_PKS3_SB_21rocsparse_index_base_22rocsparse_matrix_type_20rocsparse_fill_mode_23rocsparse_storage_mode_P22rocsparse_data_status_,"axG",@progbits,_ZN9rocsparseL23check_matrix_csr_deviceILj256ELj256E21rocsparse_complex_numIdEllEEvT3_S3_T2_PKT1_PKS4_PKS3_SB_21rocsparse_index_base_22rocsparse_matrix_type_20rocsparse_fill_mode_23rocsparse_storage_mode_P22rocsparse_data_status_,comdat
.Lfunc_end89:
	.size	_ZN9rocsparseL23check_matrix_csr_deviceILj256ELj256E21rocsparse_complex_numIdEllEEvT3_S3_T2_PKT1_PKS4_PKS3_SB_21rocsparse_index_base_22rocsparse_matrix_type_20rocsparse_fill_mode_23rocsparse_storage_mode_P22rocsparse_data_status_, .Lfunc_end89-_ZN9rocsparseL23check_matrix_csr_deviceILj256ELj256E21rocsparse_complex_numIdEllEEvT3_S3_T2_PKT1_PKS4_PKS3_SB_21rocsparse_index_base_22rocsparse_matrix_type_20rocsparse_fill_mode_23rocsparse_storage_mode_P22rocsparse_data_status_
                                        ; -- End function
	.set _ZN9rocsparseL23check_matrix_csr_deviceILj256ELj256E21rocsparse_complex_numIdEllEEvT3_S3_T2_PKT1_PKS4_PKS3_SB_21rocsparse_index_base_22rocsparse_matrix_type_20rocsparse_fill_mode_23rocsparse_storage_mode_P22rocsparse_data_status_.num_vgpr, 23
	.set _ZN9rocsparseL23check_matrix_csr_deviceILj256ELj256E21rocsparse_complex_numIdEllEEvT3_S3_T2_PKT1_PKS4_PKS3_SB_21rocsparse_index_base_22rocsparse_matrix_type_20rocsparse_fill_mode_23rocsparse_storage_mode_P22rocsparse_data_status_.num_agpr, 0
	.set _ZN9rocsparseL23check_matrix_csr_deviceILj256ELj256E21rocsparse_complex_numIdEllEEvT3_S3_T2_PKT1_PKS4_PKS3_SB_21rocsparse_index_base_22rocsparse_matrix_type_20rocsparse_fill_mode_23rocsparse_storage_mode_P22rocsparse_data_status_.numbered_sgpr, 50
	.set _ZN9rocsparseL23check_matrix_csr_deviceILj256ELj256E21rocsparse_complex_numIdEllEEvT3_S3_T2_PKT1_PKS4_PKS3_SB_21rocsparse_index_base_22rocsparse_matrix_type_20rocsparse_fill_mode_23rocsparse_storage_mode_P22rocsparse_data_status_.num_named_barrier, 0
	.set _ZN9rocsparseL23check_matrix_csr_deviceILj256ELj256E21rocsparse_complex_numIdEllEEvT3_S3_T2_PKT1_PKS4_PKS3_SB_21rocsparse_index_base_22rocsparse_matrix_type_20rocsparse_fill_mode_23rocsparse_storage_mode_P22rocsparse_data_status_.private_seg_size, 0
	.set _ZN9rocsparseL23check_matrix_csr_deviceILj256ELj256E21rocsparse_complex_numIdEllEEvT3_S3_T2_PKT1_PKS4_PKS3_SB_21rocsparse_index_base_22rocsparse_matrix_type_20rocsparse_fill_mode_23rocsparse_storage_mode_P22rocsparse_data_status_.uses_vcc, 1
	.set _ZN9rocsparseL23check_matrix_csr_deviceILj256ELj256E21rocsparse_complex_numIdEllEEvT3_S3_T2_PKT1_PKS4_PKS3_SB_21rocsparse_index_base_22rocsparse_matrix_type_20rocsparse_fill_mode_23rocsparse_storage_mode_P22rocsparse_data_status_.uses_flat_scratch, 0
	.set _ZN9rocsparseL23check_matrix_csr_deviceILj256ELj256E21rocsparse_complex_numIdEllEEvT3_S3_T2_PKT1_PKS4_PKS3_SB_21rocsparse_index_base_22rocsparse_matrix_type_20rocsparse_fill_mode_23rocsparse_storage_mode_P22rocsparse_data_status_.has_dyn_sized_stack, 0
	.set _ZN9rocsparseL23check_matrix_csr_deviceILj256ELj256E21rocsparse_complex_numIdEllEEvT3_S3_T2_PKT1_PKS4_PKS3_SB_21rocsparse_index_base_22rocsparse_matrix_type_20rocsparse_fill_mode_23rocsparse_storage_mode_P22rocsparse_data_status_.has_recursion, 0
	.set _ZN9rocsparseL23check_matrix_csr_deviceILj256ELj256E21rocsparse_complex_numIdEllEEvT3_S3_T2_PKT1_PKS4_PKS3_SB_21rocsparse_index_base_22rocsparse_matrix_type_20rocsparse_fill_mode_23rocsparse_storage_mode_P22rocsparse_data_status_.has_indirect_call, 0
	.section	.AMDGPU.csdata,"",@progbits
; Kernel info:
; codeLenInByte = 976
; TotalNumSgprs: 54
; NumVgprs: 23
; ScratchSize: 0
; MemoryBound: 0
; FloatMode: 240
; IeeeMode: 1
; LDSByteSize: 0 bytes/workgroup (compile time only)
; SGPRBlocks: 6
; VGPRBlocks: 5
; NumSGPRsForWavesPerEU: 54
; NumVGPRsForWavesPerEU: 23
; Occupancy: 10
; WaveLimiterHint : 0
; COMPUTE_PGM_RSRC2:SCRATCH_EN: 0
; COMPUTE_PGM_RSRC2:USER_SGPR: 6
; COMPUTE_PGM_RSRC2:TRAP_HANDLER: 0
; COMPUTE_PGM_RSRC2:TGID_X_EN: 1
; COMPUTE_PGM_RSRC2:TGID_Y_EN: 0
; COMPUTE_PGM_RSRC2:TGID_Z_EN: 0
; COMPUTE_PGM_RSRC2:TIDIG_COMP_CNT: 0
	.section	.AMDGPU.gpr_maximums,"",@progbits
	.set amdgpu.max_num_vgpr, 0
	.set amdgpu.max_num_agpr, 0
	.set amdgpu.max_num_sgpr, 0
	.section	.AMDGPU.csdata,"",@progbits
	.type	__hip_cuid_dd7f9308174bb8f,@object ; @__hip_cuid_dd7f9308174bb8f
	.section	.bss,"aw",@nobits
	.globl	__hip_cuid_dd7f9308174bb8f
__hip_cuid_dd7f9308174bb8f:
	.byte	0                               ; 0x0
	.size	__hip_cuid_dd7f9308174bb8f, 1

	.ident	"AMD clang version 22.0.0git (https://github.com/RadeonOpenCompute/llvm-project roc-7.2.4 26084 f58b06dce1f9c15707c5f808fd002e18c2accf7e)"
	.section	".note.GNU-stack","",@progbits
	.addrsig
	.addrsig_sym __hip_cuid_dd7f9308174bb8f
	.amdgpu_metadata
---
amdhsa.kernels:
  - .args:
      - .offset:         0
        .size:           4
        .value_kind:     by_value
      - .actual_access:  read_only
        .address_space:  global
        .offset:         8
        .size:           8
        .value_kind:     global_buffer
      - .address_space:  global
        .offset:         16
        .size:           8
        .value_kind:     global_buffer
    .group_segment_fixed_size: 0
    .kernarg_segment_align: 8
    .kernarg_segment_size: 24
    .language:       OpenCL C
    .language_version:
      - 2
      - 0
    .max_flat_workgroup_size: 256
    .name:           _ZN9rocsparseL19check_row_ptr_arrayILj256EiiEEvT1_PKT0_P22rocsparse_data_status_
    .private_segment_fixed_size: 0
    .sgpr_count:     11
    .sgpr_spill_count: 0
    .symbol:         _ZN9rocsparseL19check_row_ptr_arrayILj256EiiEEvT1_PKT0_P22rocsparse_data_status_.kd
    .uniform_work_group_size: 1
    .uses_dynamic_stack: false
    .vgpr_count:     3
    .vgpr_spill_count: 0
    .wavefront_size: 64
  - .args:
      - .offset:         0
        .size:           4
        .value_kind:     by_value
      - .actual_access:  read_only
        .address_space:  global
        .offset:         8
        .size:           8
        .value_kind:     global_buffer
      - .actual_access:  write_only
        .address_space:  global
        .offset:         16
        .size:           8
        .value_kind:     global_buffer
    .group_segment_fixed_size: 0
    .kernarg_segment_align: 8
    .kernarg_segment_size: 24
    .language:       OpenCL C
    .language_version:
      - 2
      - 0
    .max_flat_workgroup_size: 512
    .name:           _ZN9rocsparseL20shift_offsets_kernelILj512EiiEEvT1_PKT0_PS2_
    .private_segment_fixed_size: 0
    .sgpr_count:     11
    .sgpr_spill_count: 0
    .symbol:         _ZN9rocsparseL20shift_offsets_kernelILj512EiiEEvT1_PKT0_PS2_.kd
    .uniform_work_group_size: 1
    .uses_dynamic_stack: false
    .vgpr_count:     4
    .vgpr_spill_count: 0
    .wavefront_size: 64
  - .args:
      - .offset:         0
        .size:           4
        .value_kind:     by_value
      - .offset:         4
        .size:           4
        .value_kind:     by_value
      - .offset:         8
        .size:           4
        .value_kind:     by_value
      - .actual_access:  read_only
        .address_space:  global
        .offset:         16
        .size:           8
        .value_kind:     global_buffer
      - .actual_access:  read_only
        .address_space:  global
        .offset:         24
        .size:           8
        .value_kind:     global_buffer
      - .address_space:  global
        .offset:         32
        .size:           8
        .value_kind:     global_buffer
      - .address_space:  global
        .offset:         40
        .size:           8
        .value_kind:     global_buffer
      - .offset:         48
        .size:           4
        .value_kind:     by_value
      - .offset:         52
        .size:           4
        .value_kind:     by_value
      - .offset:         56
        .size:           4
        .value_kind:     by_value
      - .offset:         60
        .size:           4
        .value_kind:     by_value
      - .address_space:  global
        .offset:         64
        .size:           8
        .value_kind:     global_buffer
    .group_segment_fixed_size: 0
    .kernarg_segment_align: 8
    .kernarg_segment_size: 72
    .language:       OpenCL C
    .language_version:
      - 2
      - 0
    .max_flat_workgroup_size: 256
    .name:           _ZN9rocsparseL23check_matrix_csr_deviceILj256ELj4EfiiEEvT3_S1_T2_PKT1_PKS2_PKS1_S9_21rocsparse_index_base_22rocsparse_matrix_type_20rocsparse_fill_mode_23rocsparse_storage_mode_P22rocsparse_data_status_
    .private_segment_fixed_size: 0
    .sgpr_count:     54
    .sgpr_spill_count: 0
    .symbol:         _ZN9rocsparseL23check_matrix_csr_deviceILj256ELj4EfiiEEvT3_S1_T2_PKT1_PKS2_PKS1_S9_21rocsparse_index_base_22rocsparse_matrix_type_20rocsparse_fill_mode_23rocsparse_storage_mode_P22rocsparse_data_status_.kd
    .uniform_work_group_size: 1
    .uses_dynamic_stack: false
    .vgpr_count:     15
    .vgpr_spill_count: 0
    .wavefront_size: 64
  - .args:
      - .offset:         0
        .size:           4
        .value_kind:     by_value
      - .offset:         4
        .size:           4
        .value_kind:     by_value
      - .offset:         8
        .size:           4
        .value_kind:     by_value
      - .actual_access:  read_only
        .address_space:  global
        .offset:         16
        .size:           8
        .value_kind:     global_buffer
      - .actual_access:  read_only
        .address_space:  global
        .offset:         24
        .size:           8
        .value_kind:     global_buffer
      - .address_space:  global
        .offset:         32
        .size:           8
        .value_kind:     global_buffer
      - .address_space:  global
        .offset:         40
        .size:           8
        .value_kind:     global_buffer
      - .offset:         48
        .size:           4
        .value_kind:     by_value
      - .offset:         52
        .size:           4
        .value_kind:     by_value
      - .offset:         56
        .size:           4
        .value_kind:     by_value
      - .offset:         60
        .size:           4
        .value_kind:     by_value
      - .address_space:  global
        .offset:         64
        .size:           8
        .value_kind:     global_buffer
    .group_segment_fixed_size: 0
    .kernarg_segment_align: 8
    .kernarg_segment_size: 72
    .language:       OpenCL C
    .language_version:
      - 2
      - 0
    .max_flat_workgroup_size: 256
    .name:           _ZN9rocsparseL23check_matrix_csr_deviceILj256ELj8EfiiEEvT3_S1_T2_PKT1_PKS2_PKS1_S9_21rocsparse_index_base_22rocsparse_matrix_type_20rocsparse_fill_mode_23rocsparse_storage_mode_P22rocsparse_data_status_
    .private_segment_fixed_size: 0
    .sgpr_count:     54
    .sgpr_spill_count: 0
    .symbol:         _ZN9rocsparseL23check_matrix_csr_deviceILj256ELj8EfiiEEvT3_S1_T2_PKT1_PKS2_PKS1_S9_21rocsparse_index_base_22rocsparse_matrix_type_20rocsparse_fill_mode_23rocsparse_storage_mode_P22rocsparse_data_status_.kd
    .uniform_work_group_size: 1
    .uses_dynamic_stack: false
    .vgpr_count:     15
    .vgpr_spill_count: 0
    .wavefront_size: 64
  - .args:
      - .offset:         0
        .size:           4
        .value_kind:     by_value
      - .offset:         4
        .size:           4
        .value_kind:     by_value
      - .offset:         8
        .size:           4
        .value_kind:     by_value
      - .actual_access:  read_only
        .address_space:  global
        .offset:         16
        .size:           8
        .value_kind:     global_buffer
      - .actual_access:  read_only
        .address_space:  global
        .offset:         24
        .size:           8
        .value_kind:     global_buffer
      - .address_space:  global
        .offset:         32
        .size:           8
        .value_kind:     global_buffer
      - .address_space:  global
        .offset:         40
        .size:           8
        .value_kind:     global_buffer
      - .offset:         48
        .size:           4
        .value_kind:     by_value
      - .offset:         52
        .size:           4
        .value_kind:     by_value
      - .offset:         56
        .size:           4
        .value_kind:     by_value
      - .offset:         60
        .size:           4
        .value_kind:     by_value
      - .address_space:  global
        .offset:         64
        .size:           8
        .value_kind:     global_buffer
    .group_segment_fixed_size: 0
    .kernarg_segment_align: 8
    .kernarg_segment_size: 72
    .language:       OpenCL C
    .language_version:
      - 2
      - 0
    .max_flat_workgroup_size: 256
    .name:           _ZN9rocsparseL23check_matrix_csr_deviceILj256ELj16EfiiEEvT3_S1_T2_PKT1_PKS2_PKS1_S9_21rocsparse_index_base_22rocsparse_matrix_type_20rocsparse_fill_mode_23rocsparse_storage_mode_P22rocsparse_data_status_
    .private_segment_fixed_size: 0
    .sgpr_count:     54
    .sgpr_spill_count: 0
    .symbol:         _ZN9rocsparseL23check_matrix_csr_deviceILj256ELj16EfiiEEvT3_S1_T2_PKT1_PKS2_PKS1_S9_21rocsparse_index_base_22rocsparse_matrix_type_20rocsparse_fill_mode_23rocsparse_storage_mode_P22rocsparse_data_status_.kd
    .uniform_work_group_size: 1
    .uses_dynamic_stack: false
    .vgpr_count:     15
    .vgpr_spill_count: 0
    .wavefront_size: 64
  - .args:
      - .offset:         0
        .size:           4
        .value_kind:     by_value
      - .offset:         4
        .size:           4
        .value_kind:     by_value
      - .offset:         8
        .size:           4
        .value_kind:     by_value
      - .actual_access:  read_only
        .address_space:  global
        .offset:         16
        .size:           8
        .value_kind:     global_buffer
      - .actual_access:  read_only
        .address_space:  global
        .offset:         24
        .size:           8
        .value_kind:     global_buffer
      - .address_space:  global
        .offset:         32
        .size:           8
        .value_kind:     global_buffer
      - .address_space:  global
        .offset:         40
        .size:           8
        .value_kind:     global_buffer
      - .offset:         48
        .size:           4
        .value_kind:     by_value
      - .offset:         52
        .size:           4
        .value_kind:     by_value
      - .offset:         56
        .size:           4
        .value_kind:     by_value
      - .offset:         60
        .size:           4
        .value_kind:     by_value
      - .address_space:  global
        .offset:         64
        .size:           8
        .value_kind:     global_buffer
    .group_segment_fixed_size: 0
    .kernarg_segment_align: 8
    .kernarg_segment_size: 72
    .language:       OpenCL C
    .language_version:
      - 2
      - 0
    .max_flat_workgroup_size: 256
    .name:           _ZN9rocsparseL23check_matrix_csr_deviceILj256ELj32EfiiEEvT3_S1_T2_PKT1_PKS2_PKS1_S9_21rocsparse_index_base_22rocsparse_matrix_type_20rocsparse_fill_mode_23rocsparse_storage_mode_P22rocsparse_data_status_
    .private_segment_fixed_size: 0
    .sgpr_count:     54
    .sgpr_spill_count: 0
    .symbol:         _ZN9rocsparseL23check_matrix_csr_deviceILj256ELj32EfiiEEvT3_S1_T2_PKT1_PKS2_PKS1_S9_21rocsparse_index_base_22rocsparse_matrix_type_20rocsparse_fill_mode_23rocsparse_storage_mode_P22rocsparse_data_status_.kd
    .uniform_work_group_size: 1
    .uses_dynamic_stack: false
    .vgpr_count:     15
    .vgpr_spill_count: 0
    .wavefront_size: 64
  - .args:
      - .offset:         0
        .size:           4
        .value_kind:     by_value
      - .offset:         4
        .size:           4
        .value_kind:     by_value
      - .offset:         8
        .size:           4
        .value_kind:     by_value
      - .actual_access:  read_only
        .address_space:  global
        .offset:         16
        .size:           8
        .value_kind:     global_buffer
      - .actual_access:  read_only
        .address_space:  global
        .offset:         24
        .size:           8
        .value_kind:     global_buffer
      - .address_space:  global
        .offset:         32
        .size:           8
        .value_kind:     global_buffer
      - .address_space:  global
        .offset:         40
        .size:           8
        .value_kind:     global_buffer
      - .offset:         48
        .size:           4
        .value_kind:     by_value
      - .offset:         52
        .size:           4
        .value_kind:     by_value
      - .offset:         56
        .size:           4
        .value_kind:     by_value
      - .offset:         60
        .size:           4
        .value_kind:     by_value
      - .address_space:  global
        .offset:         64
        .size:           8
        .value_kind:     global_buffer
    .group_segment_fixed_size: 0
    .kernarg_segment_align: 8
    .kernarg_segment_size: 72
    .language:       OpenCL C
    .language_version:
      - 2
      - 0
    .max_flat_workgroup_size: 256
    .name:           _ZN9rocsparseL23check_matrix_csr_deviceILj256ELj64EfiiEEvT3_S1_T2_PKT1_PKS2_PKS1_S9_21rocsparse_index_base_22rocsparse_matrix_type_20rocsparse_fill_mode_23rocsparse_storage_mode_P22rocsparse_data_status_
    .private_segment_fixed_size: 0
    .sgpr_count:     54
    .sgpr_spill_count: 0
    .symbol:         _ZN9rocsparseL23check_matrix_csr_deviceILj256ELj64EfiiEEvT3_S1_T2_PKT1_PKS2_PKS1_S9_21rocsparse_index_base_22rocsparse_matrix_type_20rocsparse_fill_mode_23rocsparse_storage_mode_P22rocsparse_data_status_.kd
    .uniform_work_group_size: 1
    .uses_dynamic_stack: false
    .vgpr_count:     15
    .vgpr_spill_count: 0
    .wavefront_size: 64
  - .args:
      - .offset:         0
        .size:           4
        .value_kind:     by_value
      - .offset:         4
        .size:           4
        .value_kind:     by_value
      - .offset:         8
        .size:           4
        .value_kind:     by_value
      - .actual_access:  read_only
        .address_space:  global
        .offset:         16
        .size:           8
        .value_kind:     global_buffer
      - .actual_access:  read_only
        .address_space:  global
        .offset:         24
        .size:           8
        .value_kind:     global_buffer
      - .address_space:  global
        .offset:         32
        .size:           8
        .value_kind:     global_buffer
      - .address_space:  global
        .offset:         40
        .size:           8
        .value_kind:     global_buffer
      - .offset:         48
        .size:           4
        .value_kind:     by_value
      - .offset:         52
        .size:           4
        .value_kind:     by_value
      - .offset:         56
        .size:           4
        .value_kind:     by_value
      - .offset:         60
        .size:           4
        .value_kind:     by_value
      - .address_space:  global
        .offset:         64
        .size:           8
        .value_kind:     global_buffer
    .group_segment_fixed_size: 0
    .kernarg_segment_align: 8
    .kernarg_segment_size: 72
    .language:       OpenCL C
    .language_version:
      - 2
      - 0
    .max_flat_workgroup_size: 256
    .name:           _ZN9rocsparseL23check_matrix_csr_deviceILj256ELj128EfiiEEvT3_S1_T2_PKT1_PKS2_PKS1_S9_21rocsparse_index_base_22rocsparse_matrix_type_20rocsparse_fill_mode_23rocsparse_storage_mode_P22rocsparse_data_status_
    .private_segment_fixed_size: 0
    .sgpr_count:     54
    .sgpr_spill_count: 0
    .symbol:         _ZN9rocsparseL23check_matrix_csr_deviceILj256ELj128EfiiEEvT3_S1_T2_PKT1_PKS2_PKS1_S9_21rocsparse_index_base_22rocsparse_matrix_type_20rocsparse_fill_mode_23rocsparse_storage_mode_P22rocsparse_data_status_.kd
    .uniform_work_group_size: 1
    .uses_dynamic_stack: false
    .vgpr_count:     15
    .vgpr_spill_count: 0
    .wavefront_size: 64
  - .args:
      - .offset:         0
        .size:           4
        .value_kind:     by_value
      - .offset:         4
        .size:           4
        .value_kind:     by_value
      - .offset:         8
        .size:           4
        .value_kind:     by_value
      - .actual_access:  read_only
        .address_space:  global
        .offset:         16
        .size:           8
        .value_kind:     global_buffer
      - .actual_access:  read_only
        .address_space:  global
        .offset:         24
        .size:           8
        .value_kind:     global_buffer
      - .address_space:  global
        .offset:         32
        .size:           8
        .value_kind:     global_buffer
      - .address_space:  global
        .offset:         40
        .size:           8
        .value_kind:     global_buffer
      - .offset:         48
        .size:           4
        .value_kind:     by_value
      - .offset:         52
        .size:           4
        .value_kind:     by_value
      - .offset:         56
        .size:           4
        .value_kind:     by_value
      - .offset:         60
        .size:           4
        .value_kind:     by_value
      - .address_space:  global
        .offset:         64
        .size:           8
        .value_kind:     global_buffer
    .group_segment_fixed_size: 0
    .kernarg_segment_align: 8
    .kernarg_segment_size: 72
    .language:       OpenCL C
    .language_version:
      - 2
      - 0
    .max_flat_workgroup_size: 256
    .name:           _ZN9rocsparseL23check_matrix_csr_deviceILj256ELj256EfiiEEvT3_S1_T2_PKT1_PKS2_PKS1_S9_21rocsparse_index_base_22rocsparse_matrix_type_20rocsparse_fill_mode_23rocsparse_storage_mode_P22rocsparse_data_status_
    .private_segment_fixed_size: 0
    .sgpr_count:     54
    .sgpr_spill_count: 0
    .symbol:         _ZN9rocsparseL23check_matrix_csr_deviceILj256ELj256EfiiEEvT3_S1_T2_PKT1_PKS2_PKS1_S9_21rocsparse_index_base_22rocsparse_matrix_type_20rocsparse_fill_mode_23rocsparse_storage_mode_P22rocsparse_data_status_.kd
    .uniform_work_group_size: 1
    .uses_dynamic_stack: false
    .vgpr_count:     14
    .vgpr_spill_count: 0
    .wavefront_size: 64
  - .args:
      - .offset:         0
        .size:           4
        .value_kind:     by_value
      - .offset:         4
        .size:           4
        .value_kind:     by_value
      - .offset:         8
        .size:           4
        .value_kind:     by_value
      - .actual_access:  read_only
        .address_space:  global
        .offset:         16
        .size:           8
        .value_kind:     global_buffer
      - .actual_access:  read_only
        .address_space:  global
        .offset:         24
        .size:           8
        .value_kind:     global_buffer
      - .address_space:  global
        .offset:         32
        .size:           8
        .value_kind:     global_buffer
      - .address_space:  global
        .offset:         40
        .size:           8
        .value_kind:     global_buffer
      - .offset:         48
        .size:           4
        .value_kind:     by_value
      - .offset:         52
        .size:           4
        .value_kind:     by_value
      - .offset:         56
        .size:           4
        .value_kind:     by_value
      - .offset:         60
        .size:           4
        .value_kind:     by_value
      - .address_space:  global
        .offset:         64
        .size:           8
        .value_kind:     global_buffer
    .group_segment_fixed_size: 0
    .kernarg_segment_align: 8
    .kernarg_segment_size: 72
    .language:       OpenCL C
    .language_version:
      - 2
      - 0
    .max_flat_workgroup_size: 256
    .name:           _ZN9rocsparseL23check_matrix_csr_deviceILj256ELj4EdiiEEvT3_S1_T2_PKT1_PKS2_PKS1_S9_21rocsparse_index_base_22rocsparse_matrix_type_20rocsparse_fill_mode_23rocsparse_storage_mode_P22rocsparse_data_status_
    .private_segment_fixed_size: 0
    .sgpr_count:     56
    .sgpr_spill_count: 0
    .symbol:         _ZN9rocsparseL23check_matrix_csr_deviceILj256ELj4EdiiEEvT3_S1_T2_PKT1_PKS2_PKS1_S9_21rocsparse_index_base_22rocsparse_matrix_type_20rocsparse_fill_mode_23rocsparse_storage_mode_P22rocsparse_data_status_.kd
    .uniform_work_group_size: 1
    .uses_dynamic_stack: false
    .vgpr_count:     14
    .vgpr_spill_count: 0
    .wavefront_size: 64
  - .args:
      - .offset:         0
        .size:           4
        .value_kind:     by_value
      - .offset:         4
        .size:           4
        .value_kind:     by_value
      - .offset:         8
        .size:           4
        .value_kind:     by_value
      - .actual_access:  read_only
        .address_space:  global
        .offset:         16
        .size:           8
        .value_kind:     global_buffer
      - .actual_access:  read_only
        .address_space:  global
        .offset:         24
        .size:           8
        .value_kind:     global_buffer
      - .address_space:  global
        .offset:         32
        .size:           8
        .value_kind:     global_buffer
      - .address_space:  global
        .offset:         40
        .size:           8
        .value_kind:     global_buffer
      - .offset:         48
        .size:           4
        .value_kind:     by_value
      - .offset:         52
        .size:           4
        .value_kind:     by_value
      - .offset:         56
        .size:           4
        .value_kind:     by_value
      - .offset:         60
        .size:           4
        .value_kind:     by_value
      - .address_space:  global
        .offset:         64
        .size:           8
        .value_kind:     global_buffer
    .group_segment_fixed_size: 0
    .kernarg_segment_align: 8
    .kernarg_segment_size: 72
    .language:       OpenCL C
    .language_version:
      - 2
      - 0
    .max_flat_workgroup_size: 256
    .name:           _ZN9rocsparseL23check_matrix_csr_deviceILj256ELj8EdiiEEvT3_S1_T2_PKT1_PKS2_PKS1_S9_21rocsparse_index_base_22rocsparse_matrix_type_20rocsparse_fill_mode_23rocsparse_storage_mode_P22rocsparse_data_status_
    .private_segment_fixed_size: 0
    .sgpr_count:     56
    .sgpr_spill_count: 0
    .symbol:         _ZN9rocsparseL23check_matrix_csr_deviceILj256ELj8EdiiEEvT3_S1_T2_PKT1_PKS2_PKS1_S9_21rocsparse_index_base_22rocsparse_matrix_type_20rocsparse_fill_mode_23rocsparse_storage_mode_P22rocsparse_data_status_.kd
    .uniform_work_group_size: 1
    .uses_dynamic_stack: false
    .vgpr_count:     14
    .vgpr_spill_count: 0
    .wavefront_size: 64
  - .args:
      - .offset:         0
        .size:           4
        .value_kind:     by_value
      - .offset:         4
        .size:           4
        .value_kind:     by_value
      - .offset:         8
        .size:           4
        .value_kind:     by_value
      - .actual_access:  read_only
        .address_space:  global
        .offset:         16
        .size:           8
        .value_kind:     global_buffer
      - .actual_access:  read_only
        .address_space:  global
        .offset:         24
        .size:           8
        .value_kind:     global_buffer
      - .address_space:  global
        .offset:         32
        .size:           8
        .value_kind:     global_buffer
      - .address_space:  global
        .offset:         40
        .size:           8
        .value_kind:     global_buffer
      - .offset:         48
        .size:           4
        .value_kind:     by_value
      - .offset:         52
        .size:           4
        .value_kind:     by_value
      - .offset:         56
        .size:           4
        .value_kind:     by_value
      - .offset:         60
        .size:           4
        .value_kind:     by_value
      - .address_space:  global
        .offset:         64
        .size:           8
        .value_kind:     global_buffer
    .group_segment_fixed_size: 0
    .kernarg_segment_align: 8
    .kernarg_segment_size: 72
    .language:       OpenCL C
    .language_version:
      - 2
      - 0
    .max_flat_workgroup_size: 256
    .name:           _ZN9rocsparseL23check_matrix_csr_deviceILj256ELj16EdiiEEvT3_S1_T2_PKT1_PKS2_PKS1_S9_21rocsparse_index_base_22rocsparse_matrix_type_20rocsparse_fill_mode_23rocsparse_storage_mode_P22rocsparse_data_status_
    .private_segment_fixed_size: 0
    .sgpr_count:     56
    .sgpr_spill_count: 0
    .symbol:         _ZN9rocsparseL23check_matrix_csr_deviceILj256ELj16EdiiEEvT3_S1_T2_PKT1_PKS2_PKS1_S9_21rocsparse_index_base_22rocsparse_matrix_type_20rocsparse_fill_mode_23rocsparse_storage_mode_P22rocsparse_data_status_.kd
    .uniform_work_group_size: 1
    .uses_dynamic_stack: false
    .vgpr_count:     14
    .vgpr_spill_count: 0
    .wavefront_size: 64
  - .args:
      - .offset:         0
        .size:           4
        .value_kind:     by_value
      - .offset:         4
        .size:           4
        .value_kind:     by_value
      - .offset:         8
        .size:           4
        .value_kind:     by_value
      - .actual_access:  read_only
        .address_space:  global
        .offset:         16
        .size:           8
        .value_kind:     global_buffer
      - .actual_access:  read_only
        .address_space:  global
        .offset:         24
        .size:           8
        .value_kind:     global_buffer
      - .address_space:  global
        .offset:         32
        .size:           8
        .value_kind:     global_buffer
      - .address_space:  global
        .offset:         40
        .size:           8
        .value_kind:     global_buffer
      - .offset:         48
        .size:           4
        .value_kind:     by_value
      - .offset:         52
        .size:           4
        .value_kind:     by_value
      - .offset:         56
        .size:           4
        .value_kind:     by_value
      - .offset:         60
        .size:           4
        .value_kind:     by_value
      - .address_space:  global
        .offset:         64
        .size:           8
        .value_kind:     global_buffer
    .group_segment_fixed_size: 0
    .kernarg_segment_align: 8
    .kernarg_segment_size: 72
    .language:       OpenCL C
    .language_version:
      - 2
      - 0
    .max_flat_workgroup_size: 256
    .name:           _ZN9rocsparseL23check_matrix_csr_deviceILj256ELj32EdiiEEvT3_S1_T2_PKT1_PKS2_PKS1_S9_21rocsparse_index_base_22rocsparse_matrix_type_20rocsparse_fill_mode_23rocsparse_storage_mode_P22rocsparse_data_status_
    .private_segment_fixed_size: 0
    .sgpr_count:     56
    .sgpr_spill_count: 0
    .symbol:         _ZN9rocsparseL23check_matrix_csr_deviceILj256ELj32EdiiEEvT3_S1_T2_PKT1_PKS2_PKS1_S9_21rocsparse_index_base_22rocsparse_matrix_type_20rocsparse_fill_mode_23rocsparse_storage_mode_P22rocsparse_data_status_.kd
    .uniform_work_group_size: 1
    .uses_dynamic_stack: false
    .vgpr_count:     14
    .vgpr_spill_count: 0
    .wavefront_size: 64
  - .args:
      - .offset:         0
        .size:           4
        .value_kind:     by_value
      - .offset:         4
        .size:           4
        .value_kind:     by_value
      - .offset:         8
        .size:           4
        .value_kind:     by_value
      - .actual_access:  read_only
        .address_space:  global
        .offset:         16
        .size:           8
        .value_kind:     global_buffer
      - .actual_access:  read_only
        .address_space:  global
        .offset:         24
        .size:           8
        .value_kind:     global_buffer
      - .address_space:  global
        .offset:         32
        .size:           8
        .value_kind:     global_buffer
      - .address_space:  global
        .offset:         40
        .size:           8
        .value_kind:     global_buffer
      - .offset:         48
        .size:           4
        .value_kind:     by_value
      - .offset:         52
        .size:           4
        .value_kind:     by_value
      - .offset:         56
        .size:           4
        .value_kind:     by_value
      - .offset:         60
        .size:           4
        .value_kind:     by_value
      - .address_space:  global
        .offset:         64
        .size:           8
        .value_kind:     global_buffer
    .group_segment_fixed_size: 0
    .kernarg_segment_align: 8
    .kernarg_segment_size: 72
    .language:       OpenCL C
    .language_version:
      - 2
      - 0
    .max_flat_workgroup_size: 256
    .name:           _ZN9rocsparseL23check_matrix_csr_deviceILj256ELj64EdiiEEvT3_S1_T2_PKT1_PKS2_PKS1_S9_21rocsparse_index_base_22rocsparse_matrix_type_20rocsparse_fill_mode_23rocsparse_storage_mode_P22rocsparse_data_status_
    .private_segment_fixed_size: 0
    .sgpr_count:     56
    .sgpr_spill_count: 0
    .symbol:         _ZN9rocsparseL23check_matrix_csr_deviceILj256ELj64EdiiEEvT3_S1_T2_PKT1_PKS2_PKS1_S9_21rocsparse_index_base_22rocsparse_matrix_type_20rocsparse_fill_mode_23rocsparse_storage_mode_P22rocsparse_data_status_.kd
    .uniform_work_group_size: 1
    .uses_dynamic_stack: false
    .vgpr_count:     14
    .vgpr_spill_count: 0
    .wavefront_size: 64
  - .args:
      - .offset:         0
        .size:           4
        .value_kind:     by_value
      - .offset:         4
        .size:           4
        .value_kind:     by_value
      - .offset:         8
        .size:           4
        .value_kind:     by_value
      - .actual_access:  read_only
        .address_space:  global
        .offset:         16
        .size:           8
        .value_kind:     global_buffer
      - .actual_access:  read_only
        .address_space:  global
        .offset:         24
        .size:           8
        .value_kind:     global_buffer
      - .address_space:  global
        .offset:         32
        .size:           8
        .value_kind:     global_buffer
      - .address_space:  global
        .offset:         40
        .size:           8
        .value_kind:     global_buffer
      - .offset:         48
        .size:           4
        .value_kind:     by_value
      - .offset:         52
        .size:           4
        .value_kind:     by_value
      - .offset:         56
        .size:           4
        .value_kind:     by_value
      - .offset:         60
        .size:           4
        .value_kind:     by_value
      - .address_space:  global
        .offset:         64
        .size:           8
        .value_kind:     global_buffer
    .group_segment_fixed_size: 0
    .kernarg_segment_align: 8
    .kernarg_segment_size: 72
    .language:       OpenCL C
    .language_version:
      - 2
      - 0
    .max_flat_workgroup_size: 256
    .name:           _ZN9rocsparseL23check_matrix_csr_deviceILj256ELj128EdiiEEvT3_S1_T2_PKT1_PKS2_PKS1_S9_21rocsparse_index_base_22rocsparse_matrix_type_20rocsparse_fill_mode_23rocsparse_storage_mode_P22rocsparse_data_status_
    .private_segment_fixed_size: 0
    .sgpr_count:     56
    .sgpr_spill_count: 0
    .symbol:         _ZN9rocsparseL23check_matrix_csr_deviceILj256ELj128EdiiEEvT3_S1_T2_PKT1_PKS2_PKS1_S9_21rocsparse_index_base_22rocsparse_matrix_type_20rocsparse_fill_mode_23rocsparse_storage_mode_P22rocsparse_data_status_.kd
    .uniform_work_group_size: 1
    .uses_dynamic_stack: false
    .vgpr_count:     14
    .vgpr_spill_count: 0
    .wavefront_size: 64
  - .args:
      - .offset:         0
        .size:           4
        .value_kind:     by_value
      - .offset:         4
        .size:           4
        .value_kind:     by_value
      - .offset:         8
        .size:           4
        .value_kind:     by_value
      - .actual_access:  read_only
        .address_space:  global
        .offset:         16
        .size:           8
        .value_kind:     global_buffer
      - .actual_access:  read_only
        .address_space:  global
        .offset:         24
        .size:           8
        .value_kind:     global_buffer
      - .address_space:  global
        .offset:         32
        .size:           8
        .value_kind:     global_buffer
      - .address_space:  global
        .offset:         40
        .size:           8
        .value_kind:     global_buffer
      - .offset:         48
        .size:           4
        .value_kind:     by_value
      - .offset:         52
        .size:           4
        .value_kind:     by_value
      - .offset:         56
        .size:           4
        .value_kind:     by_value
      - .offset:         60
        .size:           4
        .value_kind:     by_value
      - .address_space:  global
        .offset:         64
        .size:           8
        .value_kind:     global_buffer
    .group_segment_fixed_size: 0
    .kernarg_segment_align: 8
    .kernarg_segment_size: 72
    .language:       OpenCL C
    .language_version:
      - 2
      - 0
    .max_flat_workgroup_size: 256
    .name:           _ZN9rocsparseL23check_matrix_csr_deviceILj256ELj256EdiiEEvT3_S1_T2_PKT1_PKS2_PKS1_S9_21rocsparse_index_base_22rocsparse_matrix_type_20rocsparse_fill_mode_23rocsparse_storage_mode_P22rocsparse_data_status_
    .private_segment_fixed_size: 0
    .sgpr_count:     56
    .sgpr_spill_count: 0
    .symbol:         _ZN9rocsparseL23check_matrix_csr_deviceILj256ELj256EdiiEEvT3_S1_T2_PKT1_PKS2_PKS1_S9_21rocsparse_index_base_22rocsparse_matrix_type_20rocsparse_fill_mode_23rocsparse_storage_mode_P22rocsparse_data_status_.kd
    .uniform_work_group_size: 1
    .uses_dynamic_stack: false
    .vgpr_count:     13
    .vgpr_spill_count: 0
    .wavefront_size: 64
  - .args:
      - .offset:         0
        .size:           4
        .value_kind:     by_value
      - .offset:         4
        .size:           4
        .value_kind:     by_value
      - .offset:         8
        .size:           4
        .value_kind:     by_value
      - .actual_access:  read_only
        .address_space:  global
        .offset:         16
        .size:           8
        .value_kind:     global_buffer
      - .actual_access:  read_only
        .address_space:  global
        .offset:         24
        .size:           8
        .value_kind:     global_buffer
      - .address_space:  global
        .offset:         32
        .size:           8
        .value_kind:     global_buffer
      - .address_space:  global
        .offset:         40
        .size:           8
        .value_kind:     global_buffer
      - .offset:         48
        .size:           4
        .value_kind:     by_value
      - .offset:         52
        .size:           4
        .value_kind:     by_value
      - .offset:         56
        .size:           4
        .value_kind:     by_value
      - .offset:         60
        .size:           4
        .value_kind:     by_value
      - .address_space:  global
        .offset:         64
        .size:           8
        .value_kind:     global_buffer
    .group_segment_fixed_size: 0
    .kernarg_segment_align: 8
    .kernarg_segment_size: 72
    .language:       OpenCL C
    .language_version:
      - 2
      - 0
    .max_flat_workgroup_size: 256
    .name:           _ZN9rocsparseL23check_matrix_csr_deviceILj256ELj4E21rocsparse_complex_numIfEiiEEvT3_S3_T2_PKT1_PKS4_PKS3_SB_21rocsparse_index_base_22rocsparse_matrix_type_20rocsparse_fill_mode_23rocsparse_storage_mode_P22rocsparse_data_status_
    .private_segment_fixed_size: 0
    .sgpr_count:     54
    .sgpr_spill_count: 0
    .symbol:         _ZN9rocsparseL23check_matrix_csr_deviceILj256ELj4E21rocsparse_complex_numIfEiiEEvT3_S3_T2_PKT1_PKS4_PKS3_SB_21rocsparse_index_base_22rocsparse_matrix_type_20rocsparse_fill_mode_23rocsparse_storage_mode_P22rocsparse_data_status_.kd
    .uniform_work_group_size: 1
    .uses_dynamic_stack: false
    .vgpr_count:     14
    .vgpr_spill_count: 0
    .wavefront_size: 64
  - .args:
      - .offset:         0
        .size:           4
        .value_kind:     by_value
      - .offset:         4
        .size:           4
        .value_kind:     by_value
      - .offset:         8
        .size:           4
        .value_kind:     by_value
      - .actual_access:  read_only
        .address_space:  global
        .offset:         16
        .size:           8
        .value_kind:     global_buffer
      - .actual_access:  read_only
        .address_space:  global
        .offset:         24
        .size:           8
        .value_kind:     global_buffer
      - .address_space:  global
        .offset:         32
        .size:           8
        .value_kind:     global_buffer
      - .address_space:  global
        .offset:         40
        .size:           8
        .value_kind:     global_buffer
      - .offset:         48
        .size:           4
        .value_kind:     by_value
      - .offset:         52
        .size:           4
        .value_kind:     by_value
      - .offset:         56
        .size:           4
        .value_kind:     by_value
      - .offset:         60
        .size:           4
        .value_kind:     by_value
      - .address_space:  global
        .offset:         64
        .size:           8
        .value_kind:     global_buffer
    .group_segment_fixed_size: 0
    .kernarg_segment_align: 8
    .kernarg_segment_size: 72
    .language:       OpenCL C
    .language_version:
      - 2
      - 0
    .max_flat_workgroup_size: 256
    .name:           _ZN9rocsparseL23check_matrix_csr_deviceILj256ELj8E21rocsparse_complex_numIfEiiEEvT3_S3_T2_PKT1_PKS4_PKS3_SB_21rocsparse_index_base_22rocsparse_matrix_type_20rocsparse_fill_mode_23rocsparse_storage_mode_P22rocsparse_data_status_
    .private_segment_fixed_size: 0
    .sgpr_count:     54
    .sgpr_spill_count: 0
    .symbol:         _ZN9rocsparseL23check_matrix_csr_deviceILj256ELj8E21rocsparse_complex_numIfEiiEEvT3_S3_T2_PKT1_PKS4_PKS3_SB_21rocsparse_index_base_22rocsparse_matrix_type_20rocsparse_fill_mode_23rocsparse_storage_mode_P22rocsparse_data_status_.kd
    .uniform_work_group_size: 1
    .uses_dynamic_stack: false
    .vgpr_count:     14
    .vgpr_spill_count: 0
    .wavefront_size: 64
  - .args:
      - .offset:         0
        .size:           4
        .value_kind:     by_value
      - .offset:         4
        .size:           4
        .value_kind:     by_value
      - .offset:         8
        .size:           4
        .value_kind:     by_value
      - .actual_access:  read_only
        .address_space:  global
        .offset:         16
        .size:           8
        .value_kind:     global_buffer
      - .actual_access:  read_only
        .address_space:  global
        .offset:         24
        .size:           8
        .value_kind:     global_buffer
      - .address_space:  global
        .offset:         32
        .size:           8
        .value_kind:     global_buffer
      - .address_space:  global
        .offset:         40
        .size:           8
        .value_kind:     global_buffer
      - .offset:         48
        .size:           4
        .value_kind:     by_value
      - .offset:         52
        .size:           4
        .value_kind:     by_value
      - .offset:         56
        .size:           4
        .value_kind:     by_value
      - .offset:         60
        .size:           4
        .value_kind:     by_value
      - .address_space:  global
        .offset:         64
        .size:           8
        .value_kind:     global_buffer
    .group_segment_fixed_size: 0
    .kernarg_segment_align: 8
    .kernarg_segment_size: 72
    .language:       OpenCL C
    .language_version:
      - 2
      - 0
    .max_flat_workgroup_size: 256
    .name:           _ZN9rocsparseL23check_matrix_csr_deviceILj256ELj16E21rocsparse_complex_numIfEiiEEvT3_S3_T2_PKT1_PKS4_PKS3_SB_21rocsparse_index_base_22rocsparse_matrix_type_20rocsparse_fill_mode_23rocsparse_storage_mode_P22rocsparse_data_status_
    .private_segment_fixed_size: 0
    .sgpr_count:     54
    .sgpr_spill_count: 0
    .symbol:         _ZN9rocsparseL23check_matrix_csr_deviceILj256ELj16E21rocsparse_complex_numIfEiiEEvT3_S3_T2_PKT1_PKS4_PKS3_SB_21rocsparse_index_base_22rocsparse_matrix_type_20rocsparse_fill_mode_23rocsparse_storage_mode_P22rocsparse_data_status_.kd
    .uniform_work_group_size: 1
    .uses_dynamic_stack: false
    .vgpr_count:     14
    .vgpr_spill_count: 0
    .wavefront_size: 64
  - .args:
      - .offset:         0
        .size:           4
        .value_kind:     by_value
      - .offset:         4
        .size:           4
        .value_kind:     by_value
      - .offset:         8
        .size:           4
        .value_kind:     by_value
      - .actual_access:  read_only
        .address_space:  global
        .offset:         16
        .size:           8
        .value_kind:     global_buffer
      - .actual_access:  read_only
        .address_space:  global
        .offset:         24
        .size:           8
        .value_kind:     global_buffer
      - .address_space:  global
        .offset:         32
        .size:           8
        .value_kind:     global_buffer
      - .address_space:  global
        .offset:         40
        .size:           8
        .value_kind:     global_buffer
      - .offset:         48
        .size:           4
        .value_kind:     by_value
      - .offset:         52
        .size:           4
        .value_kind:     by_value
      - .offset:         56
        .size:           4
        .value_kind:     by_value
      - .offset:         60
        .size:           4
        .value_kind:     by_value
      - .address_space:  global
        .offset:         64
        .size:           8
        .value_kind:     global_buffer
    .group_segment_fixed_size: 0
    .kernarg_segment_align: 8
    .kernarg_segment_size: 72
    .language:       OpenCL C
    .language_version:
      - 2
      - 0
    .max_flat_workgroup_size: 256
    .name:           _ZN9rocsparseL23check_matrix_csr_deviceILj256ELj32E21rocsparse_complex_numIfEiiEEvT3_S3_T2_PKT1_PKS4_PKS3_SB_21rocsparse_index_base_22rocsparse_matrix_type_20rocsparse_fill_mode_23rocsparse_storage_mode_P22rocsparse_data_status_
    .private_segment_fixed_size: 0
    .sgpr_count:     54
    .sgpr_spill_count: 0
    .symbol:         _ZN9rocsparseL23check_matrix_csr_deviceILj256ELj32E21rocsparse_complex_numIfEiiEEvT3_S3_T2_PKT1_PKS4_PKS3_SB_21rocsparse_index_base_22rocsparse_matrix_type_20rocsparse_fill_mode_23rocsparse_storage_mode_P22rocsparse_data_status_.kd
    .uniform_work_group_size: 1
    .uses_dynamic_stack: false
    .vgpr_count:     14
    .vgpr_spill_count: 0
    .wavefront_size: 64
  - .args:
      - .offset:         0
        .size:           4
        .value_kind:     by_value
      - .offset:         4
        .size:           4
        .value_kind:     by_value
      - .offset:         8
        .size:           4
        .value_kind:     by_value
      - .actual_access:  read_only
        .address_space:  global
        .offset:         16
        .size:           8
        .value_kind:     global_buffer
      - .actual_access:  read_only
        .address_space:  global
        .offset:         24
        .size:           8
        .value_kind:     global_buffer
      - .address_space:  global
        .offset:         32
        .size:           8
        .value_kind:     global_buffer
      - .address_space:  global
        .offset:         40
        .size:           8
        .value_kind:     global_buffer
      - .offset:         48
        .size:           4
        .value_kind:     by_value
      - .offset:         52
        .size:           4
        .value_kind:     by_value
      - .offset:         56
        .size:           4
        .value_kind:     by_value
      - .offset:         60
        .size:           4
        .value_kind:     by_value
      - .address_space:  global
        .offset:         64
        .size:           8
        .value_kind:     global_buffer
    .group_segment_fixed_size: 0
    .kernarg_segment_align: 8
    .kernarg_segment_size: 72
    .language:       OpenCL C
    .language_version:
      - 2
      - 0
    .max_flat_workgroup_size: 256
    .name:           _ZN9rocsparseL23check_matrix_csr_deviceILj256ELj64E21rocsparse_complex_numIfEiiEEvT3_S3_T2_PKT1_PKS4_PKS3_SB_21rocsparse_index_base_22rocsparse_matrix_type_20rocsparse_fill_mode_23rocsparse_storage_mode_P22rocsparse_data_status_
    .private_segment_fixed_size: 0
    .sgpr_count:     54
    .sgpr_spill_count: 0
    .symbol:         _ZN9rocsparseL23check_matrix_csr_deviceILj256ELj64E21rocsparse_complex_numIfEiiEEvT3_S3_T2_PKT1_PKS4_PKS3_SB_21rocsparse_index_base_22rocsparse_matrix_type_20rocsparse_fill_mode_23rocsparse_storage_mode_P22rocsparse_data_status_.kd
    .uniform_work_group_size: 1
    .uses_dynamic_stack: false
    .vgpr_count:     14
    .vgpr_spill_count: 0
    .wavefront_size: 64
  - .args:
      - .offset:         0
        .size:           4
        .value_kind:     by_value
      - .offset:         4
        .size:           4
        .value_kind:     by_value
      - .offset:         8
        .size:           4
        .value_kind:     by_value
      - .actual_access:  read_only
        .address_space:  global
        .offset:         16
        .size:           8
        .value_kind:     global_buffer
      - .actual_access:  read_only
        .address_space:  global
        .offset:         24
        .size:           8
        .value_kind:     global_buffer
      - .address_space:  global
        .offset:         32
        .size:           8
        .value_kind:     global_buffer
      - .address_space:  global
        .offset:         40
        .size:           8
        .value_kind:     global_buffer
      - .offset:         48
        .size:           4
        .value_kind:     by_value
      - .offset:         52
        .size:           4
        .value_kind:     by_value
      - .offset:         56
        .size:           4
        .value_kind:     by_value
      - .offset:         60
        .size:           4
        .value_kind:     by_value
      - .address_space:  global
        .offset:         64
        .size:           8
        .value_kind:     global_buffer
    .group_segment_fixed_size: 0
    .kernarg_segment_align: 8
    .kernarg_segment_size: 72
    .language:       OpenCL C
    .language_version:
      - 2
      - 0
    .max_flat_workgroup_size: 256
    .name:           _ZN9rocsparseL23check_matrix_csr_deviceILj256ELj128E21rocsparse_complex_numIfEiiEEvT3_S3_T2_PKT1_PKS4_PKS3_SB_21rocsparse_index_base_22rocsparse_matrix_type_20rocsparse_fill_mode_23rocsparse_storage_mode_P22rocsparse_data_status_
    .private_segment_fixed_size: 0
    .sgpr_count:     54
    .sgpr_spill_count: 0
    .symbol:         _ZN9rocsparseL23check_matrix_csr_deviceILj256ELj128E21rocsparse_complex_numIfEiiEEvT3_S3_T2_PKT1_PKS4_PKS3_SB_21rocsparse_index_base_22rocsparse_matrix_type_20rocsparse_fill_mode_23rocsparse_storage_mode_P22rocsparse_data_status_.kd
    .uniform_work_group_size: 1
    .uses_dynamic_stack: false
    .vgpr_count:     14
    .vgpr_spill_count: 0
    .wavefront_size: 64
  - .args:
      - .offset:         0
        .size:           4
        .value_kind:     by_value
      - .offset:         4
        .size:           4
        .value_kind:     by_value
      - .offset:         8
        .size:           4
        .value_kind:     by_value
      - .actual_access:  read_only
        .address_space:  global
        .offset:         16
        .size:           8
        .value_kind:     global_buffer
      - .actual_access:  read_only
        .address_space:  global
        .offset:         24
        .size:           8
        .value_kind:     global_buffer
      - .address_space:  global
        .offset:         32
        .size:           8
        .value_kind:     global_buffer
      - .address_space:  global
        .offset:         40
        .size:           8
        .value_kind:     global_buffer
      - .offset:         48
        .size:           4
        .value_kind:     by_value
      - .offset:         52
        .size:           4
        .value_kind:     by_value
      - .offset:         56
        .size:           4
        .value_kind:     by_value
      - .offset:         60
        .size:           4
        .value_kind:     by_value
      - .address_space:  global
        .offset:         64
        .size:           8
        .value_kind:     global_buffer
    .group_segment_fixed_size: 0
    .kernarg_segment_align: 8
    .kernarg_segment_size: 72
    .language:       OpenCL C
    .language_version:
      - 2
      - 0
    .max_flat_workgroup_size: 256
    .name:           _ZN9rocsparseL23check_matrix_csr_deviceILj256ELj256E21rocsparse_complex_numIfEiiEEvT3_S3_T2_PKT1_PKS4_PKS3_SB_21rocsparse_index_base_22rocsparse_matrix_type_20rocsparse_fill_mode_23rocsparse_storage_mode_P22rocsparse_data_status_
    .private_segment_fixed_size: 0
    .sgpr_count:     54
    .sgpr_spill_count: 0
    .symbol:         _ZN9rocsparseL23check_matrix_csr_deviceILj256ELj256E21rocsparse_complex_numIfEiiEEvT3_S3_T2_PKT1_PKS4_PKS3_SB_21rocsparse_index_base_22rocsparse_matrix_type_20rocsparse_fill_mode_23rocsparse_storage_mode_P22rocsparse_data_status_.kd
    .uniform_work_group_size: 1
    .uses_dynamic_stack: false
    .vgpr_count:     13
    .vgpr_spill_count: 0
    .wavefront_size: 64
  - .args:
      - .offset:         0
        .size:           4
        .value_kind:     by_value
      - .offset:         4
        .size:           4
        .value_kind:     by_value
      - .offset:         8
        .size:           4
        .value_kind:     by_value
      - .actual_access:  read_only
        .address_space:  global
        .offset:         16
        .size:           8
        .value_kind:     global_buffer
      - .actual_access:  read_only
        .address_space:  global
        .offset:         24
        .size:           8
        .value_kind:     global_buffer
      - .address_space:  global
        .offset:         32
        .size:           8
        .value_kind:     global_buffer
      - .address_space:  global
        .offset:         40
        .size:           8
        .value_kind:     global_buffer
      - .offset:         48
        .size:           4
        .value_kind:     by_value
      - .offset:         52
        .size:           4
        .value_kind:     by_value
      - .offset:         56
        .size:           4
        .value_kind:     by_value
      - .offset:         60
        .size:           4
        .value_kind:     by_value
      - .address_space:  global
        .offset:         64
        .size:           8
        .value_kind:     global_buffer
    .group_segment_fixed_size: 0
    .kernarg_segment_align: 8
    .kernarg_segment_size: 72
    .language:       OpenCL C
    .language_version:
      - 2
      - 0
    .max_flat_workgroup_size: 256
    .name:           _ZN9rocsparseL23check_matrix_csr_deviceILj256ELj4E21rocsparse_complex_numIdEiiEEvT3_S3_T2_PKT1_PKS4_PKS3_SB_21rocsparse_index_base_22rocsparse_matrix_type_20rocsparse_fill_mode_23rocsparse_storage_mode_P22rocsparse_data_status_
    .private_segment_fixed_size: 0
    .sgpr_count:     56
    .sgpr_spill_count: 0
    .symbol:         _ZN9rocsparseL23check_matrix_csr_deviceILj256ELj4E21rocsparse_complex_numIdEiiEEvT3_S3_T2_PKT1_PKS4_PKS3_SB_21rocsparse_index_base_22rocsparse_matrix_type_20rocsparse_fill_mode_23rocsparse_storage_mode_P22rocsparse_data_status_.kd
    .uniform_work_group_size: 1
    .uses_dynamic_stack: false
    .vgpr_count:     15
    .vgpr_spill_count: 0
    .wavefront_size: 64
  - .args:
      - .offset:         0
        .size:           4
        .value_kind:     by_value
      - .offset:         4
        .size:           4
        .value_kind:     by_value
      - .offset:         8
        .size:           4
        .value_kind:     by_value
      - .actual_access:  read_only
        .address_space:  global
        .offset:         16
        .size:           8
        .value_kind:     global_buffer
      - .actual_access:  read_only
        .address_space:  global
        .offset:         24
        .size:           8
        .value_kind:     global_buffer
      - .address_space:  global
        .offset:         32
        .size:           8
        .value_kind:     global_buffer
      - .address_space:  global
        .offset:         40
        .size:           8
        .value_kind:     global_buffer
      - .offset:         48
        .size:           4
        .value_kind:     by_value
      - .offset:         52
        .size:           4
        .value_kind:     by_value
      - .offset:         56
        .size:           4
        .value_kind:     by_value
      - .offset:         60
        .size:           4
        .value_kind:     by_value
      - .address_space:  global
        .offset:         64
        .size:           8
        .value_kind:     global_buffer
    .group_segment_fixed_size: 0
    .kernarg_segment_align: 8
    .kernarg_segment_size: 72
    .language:       OpenCL C
    .language_version:
      - 2
      - 0
    .max_flat_workgroup_size: 256
    .name:           _ZN9rocsparseL23check_matrix_csr_deviceILj256ELj8E21rocsparse_complex_numIdEiiEEvT3_S3_T2_PKT1_PKS4_PKS3_SB_21rocsparse_index_base_22rocsparse_matrix_type_20rocsparse_fill_mode_23rocsparse_storage_mode_P22rocsparse_data_status_
    .private_segment_fixed_size: 0
    .sgpr_count:     56
    .sgpr_spill_count: 0
    .symbol:         _ZN9rocsparseL23check_matrix_csr_deviceILj256ELj8E21rocsparse_complex_numIdEiiEEvT3_S3_T2_PKT1_PKS4_PKS3_SB_21rocsparse_index_base_22rocsparse_matrix_type_20rocsparse_fill_mode_23rocsparse_storage_mode_P22rocsparse_data_status_.kd
    .uniform_work_group_size: 1
    .uses_dynamic_stack: false
    .vgpr_count:     15
    .vgpr_spill_count: 0
    .wavefront_size: 64
  - .args:
      - .offset:         0
        .size:           4
        .value_kind:     by_value
      - .offset:         4
        .size:           4
        .value_kind:     by_value
      - .offset:         8
        .size:           4
        .value_kind:     by_value
      - .actual_access:  read_only
        .address_space:  global
        .offset:         16
        .size:           8
        .value_kind:     global_buffer
      - .actual_access:  read_only
        .address_space:  global
        .offset:         24
        .size:           8
        .value_kind:     global_buffer
      - .address_space:  global
        .offset:         32
        .size:           8
        .value_kind:     global_buffer
      - .address_space:  global
        .offset:         40
        .size:           8
        .value_kind:     global_buffer
      - .offset:         48
        .size:           4
        .value_kind:     by_value
      - .offset:         52
        .size:           4
        .value_kind:     by_value
      - .offset:         56
        .size:           4
        .value_kind:     by_value
      - .offset:         60
        .size:           4
        .value_kind:     by_value
      - .address_space:  global
        .offset:         64
        .size:           8
        .value_kind:     global_buffer
    .group_segment_fixed_size: 0
    .kernarg_segment_align: 8
    .kernarg_segment_size: 72
    .language:       OpenCL C
    .language_version:
      - 2
      - 0
    .max_flat_workgroup_size: 256
    .name:           _ZN9rocsparseL23check_matrix_csr_deviceILj256ELj16E21rocsparse_complex_numIdEiiEEvT3_S3_T2_PKT1_PKS4_PKS3_SB_21rocsparse_index_base_22rocsparse_matrix_type_20rocsparse_fill_mode_23rocsparse_storage_mode_P22rocsparse_data_status_
    .private_segment_fixed_size: 0
    .sgpr_count:     56
    .sgpr_spill_count: 0
    .symbol:         _ZN9rocsparseL23check_matrix_csr_deviceILj256ELj16E21rocsparse_complex_numIdEiiEEvT3_S3_T2_PKT1_PKS4_PKS3_SB_21rocsparse_index_base_22rocsparse_matrix_type_20rocsparse_fill_mode_23rocsparse_storage_mode_P22rocsparse_data_status_.kd
    .uniform_work_group_size: 1
    .uses_dynamic_stack: false
    .vgpr_count:     15
    .vgpr_spill_count: 0
    .wavefront_size: 64
  - .args:
      - .offset:         0
        .size:           4
        .value_kind:     by_value
      - .offset:         4
        .size:           4
        .value_kind:     by_value
      - .offset:         8
        .size:           4
        .value_kind:     by_value
      - .actual_access:  read_only
        .address_space:  global
        .offset:         16
        .size:           8
        .value_kind:     global_buffer
      - .actual_access:  read_only
        .address_space:  global
        .offset:         24
        .size:           8
        .value_kind:     global_buffer
      - .address_space:  global
        .offset:         32
        .size:           8
        .value_kind:     global_buffer
      - .address_space:  global
        .offset:         40
        .size:           8
        .value_kind:     global_buffer
      - .offset:         48
        .size:           4
        .value_kind:     by_value
      - .offset:         52
        .size:           4
        .value_kind:     by_value
      - .offset:         56
        .size:           4
        .value_kind:     by_value
      - .offset:         60
        .size:           4
        .value_kind:     by_value
      - .address_space:  global
        .offset:         64
        .size:           8
        .value_kind:     global_buffer
    .group_segment_fixed_size: 0
    .kernarg_segment_align: 8
    .kernarg_segment_size: 72
    .language:       OpenCL C
    .language_version:
      - 2
      - 0
    .max_flat_workgroup_size: 256
    .name:           _ZN9rocsparseL23check_matrix_csr_deviceILj256ELj32E21rocsparse_complex_numIdEiiEEvT3_S3_T2_PKT1_PKS4_PKS3_SB_21rocsparse_index_base_22rocsparse_matrix_type_20rocsparse_fill_mode_23rocsparse_storage_mode_P22rocsparse_data_status_
    .private_segment_fixed_size: 0
    .sgpr_count:     56
    .sgpr_spill_count: 0
    .symbol:         _ZN9rocsparseL23check_matrix_csr_deviceILj256ELj32E21rocsparse_complex_numIdEiiEEvT3_S3_T2_PKT1_PKS4_PKS3_SB_21rocsparse_index_base_22rocsparse_matrix_type_20rocsparse_fill_mode_23rocsparse_storage_mode_P22rocsparse_data_status_.kd
    .uniform_work_group_size: 1
    .uses_dynamic_stack: false
    .vgpr_count:     15
    .vgpr_spill_count: 0
    .wavefront_size: 64
  - .args:
      - .offset:         0
        .size:           4
        .value_kind:     by_value
      - .offset:         4
        .size:           4
        .value_kind:     by_value
      - .offset:         8
        .size:           4
        .value_kind:     by_value
      - .actual_access:  read_only
        .address_space:  global
        .offset:         16
        .size:           8
        .value_kind:     global_buffer
      - .actual_access:  read_only
        .address_space:  global
        .offset:         24
        .size:           8
        .value_kind:     global_buffer
      - .address_space:  global
        .offset:         32
        .size:           8
        .value_kind:     global_buffer
      - .address_space:  global
        .offset:         40
        .size:           8
        .value_kind:     global_buffer
      - .offset:         48
        .size:           4
        .value_kind:     by_value
      - .offset:         52
        .size:           4
        .value_kind:     by_value
      - .offset:         56
        .size:           4
        .value_kind:     by_value
      - .offset:         60
        .size:           4
        .value_kind:     by_value
      - .address_space:  global
        .offset:         64
        .size:           8
        .value_kind:     global_buffer
    .group_segment_fixed_size: 0
    .kernarg_segment_align: 8
    .kernarg_segment_size: 72
    .language:       OpenCL C
    .language_version:
      - 2
      - 0
    .max_flat_workgroup_size: 256
    .name:           _ZN9rocsparseL23check_matrix_csr_deviceILj256ELj64E21rocsparse_complex_numIdEiiEEvT3_S3_T2_PKT1_PKS4_PKS3_SB_21rocsparse_index_base_22rocsparse_matrix_type_20rocsparse_fill_mode_23rocsparse_storage_mode_P22rocsparse_data_status_
    .private_segment_fixed_size: 0
    .sgpr_count:     56
    .sgpr_spill_count: 0
    .symbol:         _ZN9rocsparseL23check_matrix_csr_deviceILj256ELj64E21rocsparse_complex_numIdEiiEEvT3_S3_T2_PKT1_PKS4_PKS3_SB_21rocsparse_index_base_22rocsparse_matrix_type_20rocsparse_fill_mode_23rocsparse_storage_mode_P22rocsparse_data_status_.kd
    .uniform_work_group_size: 1
    .uses_dynamic_stack: false
    .vgpr_count:     15
    .vgpr_spill_count: 0
    .wavefront_size: 64
  - .args:
      - .offset:         0
        .size:           4
        .value_kind:     by_value
      - .offset:         4
        .size:           4
        .value_kind:     by_value
      - .offset:         8
        .size:           4
        .value_kind:     by_value
      - .actual_access:  read_only
        .address_space:  global
        .offset:         16
        .size:           8
        .value_kind:     global_buffer
      - .actual_access:  read_only
        .address_space:  global
        .offset:         24
        .size:           8
        .value_kind:     global_buffer
      - .address_space:  global
        .offset:         32
        .size:           8
        .value_kind:     global_buffer
      - .address_space:  global
        .offset:         40
        .size:           8
        .value_kind:     global_buffer
      - .offset:         48
        .size:           4
        .value_kind:     by_value
      - .offset:         52
        .size:           4
        .value_kind:     by_value
      - .offset:         56
        .size:           4
        .value_kind:     by_value
      - .offset:         60
        .size:           4
        .value_kind:     by_value
      - .address_space:  global
        .offset:         64
        .size:           8
        .value_kind:     global_buffer
    .group_segment_fixed_size: 0
    .kernarg_segment_align: 8
    .kernarg_segment_size: 72
    .language:       OpenCL C
    .language_version:
      - 2
      - 0
    .max_flat_workgroup_size: 256
    .name:           _ZN9rocsparseL23check_matrix_csr_deviceILj256ELj128E21rocsparse_complex_numIdEiiEEvT3_S3_T2_PKT1_PKS4_PKS3_SB_21rocsparse_index_base_22rocsparse_matrix_type_20rocsparse_fill_mode_23rocsparse_storage_mode_P22rocsparse_data_status_
    .private_segment_fixed_size: 0
    .sgpr_count:     56
    .sgpr_spill_count: 0
    .symbol:         _ZN9rocsparseL23check_matrix_csr_deviceILj256ELj128E21rocsparse_complex_numIdEiiEEvT3_S3_T2_PKT1_PKS4_PKS3_SB_21rocsparse_index_base_22rocsparse_matrix_type_20rocsparse_fill_mode_23rocsparse_storage_mode_P22rocsparse_data_status_.kd
    .uniform_work_group_size: 1
    .uses_dynamic_stack: false
    .vgpr_count:     15
    .vgpr_spill_count: 0
    .wavefront_size: 64
  - .args:
      - .offset:         0
        .size:           4
        .value_kind:     by_value
      - .offset:         4
        .size:           4
        .value_kind:     by_value
      - .offset:         8
        .size:           4
        .value_kind:     by_value
      - .actual_access:  read_only
        .address_space:  global
        .offset:         16
        .size:           8
        .value_kind:     global_buffer
      - .actual_access:  read_only
        .address_space:  global
        .offset:         24
        .size:           8
        .value_kind:     global_buffer
      - .address_space:  global
        .offset:         32
        .size:           8
        .value_kind:     global_buffer
      - .address_space:  global
        .offset:         40
        .size:           8
        .value_kind:     global_buffer
      - .offset:         48
        .size:           4
        .value_kind:     by_value
      - .offset:         52
        .size:           4
        .value_kind:     by_value
      - .offset:         56
        .size:           4
        .value_kind:     by_value
      - .offset:         60
        .size:           4
        .value_kind:     by_value
      - .address_space:  global
        .offset:         64
        .size:           8
        .value_kind:     global_buffer
    .group_segment_fixed_size: 0
    .kernarg_segment_align: 8
    .kernarg_segment_size: 72
    .language:       OpenCL C
    .language_version:
      - 2
      - 0
    .max_flat_workgroup_size: 256
    .name:           _ZN9rocsparseL23check_matrix_csr_deviceILj256ELj256E21rocsparse_complex_numIdEiiEEvT3_S3_T2_PKT1_PKS4_PKS3_SB_21rocsparse_index_base_22rocsparse_matrix_type_20rocsparse_fill_mode_23rocsparse_storage_mode_P22rocsparse_data_status_
    .private_segment_fixed_size: 0
    .sgpr_count:     56
    .sgpr_spill_count: 0
    .symbol:         _ZN9rocsparseL23check_matrix_csr_deviceILj256ELj256E21rocsparse_complex_numIdEiiEEvT3_S3_T2_PKT1_PKS4_PKS3_SB_21rocsparse_index_base_22rocsparse_matrix_type_20rocsparse_fill_mode_23rocsparse_storage_mode_P22rocsparse_data_status_.kd
    .uniform_work_group_size: 1
    .uses_dynamic_stack: false
    .vgpr_count:     14
    .vgpr_spill_count: 0
    .wavefront_size: 64
  - .args:
      - .offset:         0
        .size:           4
        .value_kind:     by_value
      - .actual_access:  read_only
        .address_space:  global
        .offset:         8
        .size:           8
        .value_kind:     global_buffer
      - .address_space:  global
        .offset:         16
        .size:           8
        .value_kind:     global_buffer
    .group_segment_fixed_size: 0
    .kernarg_segment_align: 8
    .kernarg_segment_size: 24
    .language:       OpenCL C
    .language_version:
      - 2
      - 0
    .max_flat_workgroup_size: 256
    .name:           _ZN9rocsparseL19check_row_ptr_arrayILj256EliEEvT1_PKT0_P22rocsparse_data_status_
    .private_segment_fixed_size: 0
    .sgpr_count:     11
    .sgpr_spill_count: 0
    .symbol:         _ZN9rocsparseL19check_row_ptr_arrayILj256EliEEvT1_PKT0_P22rocsparse_data_status_.kd
    .uniform_work_group_size: 1
    .uses_dynamic_stack: false
    .vgpr_count:     4
    .vgpr_spill_count: 0
    .wavefront_size: 64
  - .args:
      - .offset:         0
        .size:           4
        .value_kind:     by_value
      - .actual_access:  read_only
        .address_space:  global
        .offset:         8
        .size:           8
        .value_kind:     global_buffer
      - .actual_access:  write_only
        .address_space:  global
        .offset:         16
        .size:           8
        .value_kind:     global_buffer
    .group_segment_fixed_size: 0
    .kernarg_segment_align: 8
    .kernarg_segment_size: 24
    .language:       OpenCL C
    .language_version:
      - 2
      - 0
    .max_flat_workgroup_size: 512
    .name:           _ZN9rocsparseL20shift_offsets_kernelILj512EliEEvT1_PKT0_PS2_
    .private_segment_fixed_size: 0
    .sgpr_count:     11
    .sgpr_spill_count: 0
    .symbol:         _ZN9rocsparseL20shift_offsets_kernelILj512EliEEvT1_PKT0_PS2_.kd
    .uniform_work_group_size: 1
    .uses_dynamic_stack: false
    .vgpr_count:     5
    .vgpr_spill_count: 0
    .wavefront_size: 64
  - .args:
      - .offset:         0
        .size:           4
        .value_kind:     by_value
      - .offset:         4
        .size:           4
        .value_kind:     by_value
      - .offset:         8
        .size:           8
        .value_kind:     by_value
      - .actual_access:  read_only
        .address_space:  global
        .offset:         16
        .size:           8
        .value_kind:     global_buffer
      - .actual_access:  read_only
        .address_space:  global
        .offset:         24
        .size:           8
        .value_kind:     global_buffer
      - .address_space:  global
        .offset:         32
        .size:           8
        .value_kind:     global_buffer
      - .address_space:  global
        .offset:         40
        .size:           8
        .value_kind:     global_buffer
      - .offset:         48
        .size:           4
        .value_kind:     by_value
      - .offset:         52
        .size:           4
        .value_kind:     by_value
      - .offset:         56
        .size:           4
        .value_kind:     by_value
      - .offset:         60
        .size:           4
        .value_kind:     by_value
      - .address_space:  global
        .offset:         64
        .size:           8
        .value_kind:     global_buffer
    .group_segment_fixed_size: 0
    .kernarg_segment_align: 8
    .kernarg_segment_size: 72
    .language:       OpenCL C
    .language_version:
      - 2
      - 0
    .max_flat_workgroup_size: 256
    .name:           _ZN9rocsparseL23check_matrix_csr_deviceILj256ELj4EfliEEvT3_S1_T2_PKT1_PKS2_PKS1_S9_21rocsparse_index_base_22rocsparse_matrix_type_20rocsparse_fill_mode_23rocsparse_storage_mode_P22rocsparse_data_status_
    .private_segment_fixed_size: 0
    .sgpr_count:     50
    .sgpr_spill_count: 0
    .symbol:         _ZN9rocsparseL23check_matrix_csr_deviceILj256ELj4EfliEEvT3_S1_T2_PKT1_PKS2_PKS1_S9_21rocsparse_index_base_22rocsparse_matrix_type_20rocsparse_fill_mode_23rocsparse_storage_mode_P22rocsparse_data_status_.kd
    .uniform_work_group_size: 1
    .uses_dynamic_stack: false
    .vgpr_count:     19
    .vgpr_spill_count: 0
    .wavefront_size: 64
  - .args:
      - .offset:         0
        .size:           4
        .value_kind:     by_value
      - .offset:         4
        .size:           4
        .value_kind:     by_value
      - .offset:         8
        .size:           8
        .value_kind:     by_value
      - .actual_access:  read_only
        .address_space:  global
        .offset:         16
        .size:           8
        .value_kind:     global_buffer
      - .actual_access:  read_only
        .address_space:  global
        .offset:         24
        .size:           8
        .value_kind:     global_buffer
      - .address_space:  global
        .offset:         32
        .size:           8
        .value_kind:     global_buffer
      - .address_space:  global
        .offset:         40
        .size:           8
        .value_kind:     global_buffer
      - .offset:         48
        .size:           4
        .value_kind:     by_value
      - .offset:         52
        .size:           4
        .value_kind:     by_value
      - .offset:         56
        .size:           4
        .value_kind:     by_value
      - .offset:         60
        .size:           4
        .value_kind:     by_value
      - .address_space:  global
        .offset:         64
        .size:           8
        .value_kind:     global_buffer
    .group_segment_fixed_size: 0
    .kernarg_segment_align: 8
    .kernarg_segment_size: 72
    .language:       OpenCL C
    .language_version:
      - 2
      - 0
    .max_flat_workgroup_size: 256
    .name:           _ZN9rocsparseL23check_matrix_csr_deviceILj256ELj8EfliEEvT3_S1_T2_PKT1_PKS2_PKS1_S9_21rocsparse_index_base_22rocsparse_matrix_type_20rocsparse_fill_mode_23rocsparse_storage_mode_P22rocsparse_data_status_
    .private_segment_fixed_size: 0
    .sgpr_count:     50
    .sgpr_spill_count: 0
    .symbol:         _ZN9rocsparseL23check_matrix_csr_deviceILj256ELj8EfliEEvT3_S1_T2_PKT1_PKS2_PKS1_S9_21rocsparse_index_base_22rocsparse_matrix_type_20rocsparse_fill_mode_23rocsparse_storage_mode_P22rocsparse_data_status_.kd
    .uniform_work_group_size: 1
    .uses_dynamic_stack: false
    .vgpr_count:     19
    .vgpr_spill_count: 0
    .wavefront_size: 64
  - .args:
      - .offset:         0
        .size:           4
        .value_kind:     by_value
      - .offset:         4
        .size:           4
        .value_kind:     by_value
      - .offset:         8
        .size:           8
        .value_kind:     by_value
      - .actual_access:  read_only
        .address_space:  global
        .offset:         16
        .size:           8
        .value_kind:     global_buffer
      - .actual_access:  read_only
        .address_space:  global
        .offset:         24
        .size:           8
        .value_kind:     global_buffer
      - .address_space:  global
        .offset:         32
        .size:           8
        .value_kind:     global_buffer
      - .address_space:  global
        .offset:         40
        .size:           8
        .value_kind:     global_buffer
      - .offset:         48
        .size:           4
        .value_kind:     by_value
      - .offset:         52
        .size:           4
        .value_kind:     by_value
      - .offset:         56
        .size:           4
        .value_kind:     by_value
      - .offset:         60
        .size:           4
        .value_kind:     by_value
      - .address_space:  global
        .offset:         64
        .size:           8
        .value_kind:     global_buffer
    .group_segment_fixed_size: 0
    .kernarg_segment_align: 8
    .kernarg_segment_size: 72
    .language:       OpenCL C
    .language_version:
      - 2
      - 0
    .max_flat_workgroup_size: 256
    .name:           _ZN9rocsparseL23check_matrix_csr_deviceILj256ELj16EfliEEvT3_S1_T2_PKT1_PKS2_PKS1_S9_21rocsparse_index_base_22rocsparse_matrix_type_20rocsparse_fill_mode_23rocsparse_storage_mode_P22rocsparse_data_status_
    .private_segment_fixed_size: 0
    .sgpr_count:     50
    .sgpr_spill_count: 0
    .symbol:         _ZN9rocsparseL23check_matrix_csr_deviceILj256ELj16EfliEEvT3_S1_T2_PKT1_PKS2_PKS1_S9_21rocsparse_index_base_22rocsparse_matrix_type_20rocsparse_fill_mode_23rocsparse_storage_mode_P22rocsparse_data_status_.kd
    .uniform_work_group_size: 1
    .uses_dynamic_stack: false
    .vgpr_count:     19
    .vgpr_spill_count: 0
    .wavefront_size: 64
  - .args:
      - .offset:         0
        .size:           4
        .value_kind:     by_value
      - .offset:         4
        .size:           4
        .value_kind:     by_value
      - .offset:         8
        .size:           8
        .value_kind:     by_value
      - .actual_access:  read_only
        .address_space:  global
        .offset:         16
        .size:           8
        .value_kind:     global_buffer
      - .actual_access:  read_only
        .address_space:  global
        .offset:         24
        .size:           8
        .value_kind:     global_buffer
      - .address_space:  global
        .offset:         32
        .size:           8
        .value_kind:     global_buffer
      - .address_space:  global
        .offset:         40
        .size:           8
        .value_kind:     global_buffer
      - .offset:         48
        .size:           4
        .value_kind:     by_value
      - .offset:         52
        .size:           4
        .value_kind:     by_value
      - .offset:         56
        .size:           4
        .value_kind:     by_value
      - .offset:         60
        .size:           4
        .value_kind:     by_value
      - .address_space:  global
        .offset:         64
        .size:           8
        .value_kind:     global_buffer
    .group_segment_fixed_size: 0
    .kernarg_segment_align: 8
    .kernarg_segment_size: 72
    .language:       OpenCL C
    .language_version:
      - 2
      - 0
    .max_flat_workgroup_size: 256
    .name:           _ZN9rocsparseL23check_matrix_csr_deviceILj256ELj32EfliEEvT3_S1_T2_PKT1_PKS2_PKS1_S9_21rocsparse_index_base_22rocsparse_matrix_type_20rocsparse_fill_mode_23rocsparse_storage_mode_P22rocsparse_data_status_
    .private_segment_fixed_size: 0
    .sgpr_count:     50
    .sgpr_spill_count: 0
    .symbol:         _ZN9rocsparseL23check_matrix_csr_deviceILj256ELj32EfliEEvT3_S1_T2_PKT1_PKS2_PKS1_S9_21rocsparse_index_base_22rocsparse_matrix_type_20rocsparse_fill_mode_23rocsparse_storage_mode_P22rocsparse_data_status_.kd
    .uniform_work_group_size: 1
    .uses_dynamic_stack: false
    .vgpr_count:     19
    .vgpr_spill_count: 0
    .wavefront_size: 64
  - .args:
      - .offset:         0
        .size:           4
        .value_kind:     by_value
      - .offset:         4
        .size:           4
        .value_kind:     by_value
      - .offset:         8
        .size:           8
        .value_kind:     by_value
      - .actual_access:  read_only
        .address_space:  global
        .offset:         16
        .size:           8
        .value_kind:     global_buffer
      - .actual_access:  read_only
        .address_space:  global
        .offset:         24
        .size:           8
        .value_kind:     global_buffer
      - .address_space:  global
        .offset:         32
        .size:           8
        .value_kind:     global_buffer
      - .address_space:  global
        .offset:         40
        .size:           8
        .value_kind:     global_buffer
      - .offset:         48
        .size:           4
        .value_kind:     by_value
      - .offset:         52
        .size:           4
        .value_kind:     by_value
      - .offset:         56
        .size:           4
        .value_kind:     by_value
      - .offset:         60
        .size:           4
        .value_kind:     by_value
      - .address_space:  global
        .offset:         64
        .size:           8
        .value_kind:     global_buffer
    .group_segment_fixed_size: 0
    .kernarg_segment_align: 8
    .kernarg_segment_size: 72
    .language:       OpenCL C
    .language_version:
      - 2
      - 0
    .max_flat_workgroup_size: 256
    .name:           _ZN9rocsparseL23check_matrix_csr_deviceILj256ELj64EfliEEvT3_S1_T2_PKT1_PKS2_PKS1_S9_21rocsparse_index_base_22rocsparse_matrix_type_20rocsparse_fill_mode_23rocsparse_storage_mode_P22rocsparse_data_status_
    .private_segment_fixed_size: 0
    .sgpr_count:     50
    .sgpr_spill_count: 0
    .symbol:         _ZN9rocsparseL23check_matrix_csr_deviceILj256ELj64EfliEEvT3_S1_T2_PKT1_PKS2_PKS1_S9_21rocsparse_index_base_22rocsparse_matrix_type_20rocsparse_fill_mode_23rocsparse_storage_mode_P22rocsparse_data_status_.kd
    .uniform_work_group_size: 1
    .uses_dynamic_stack: false
    .vgpr_count:     19
    .vgpr_spill_count: 0
    .wavefront_size: 64
  - .args:
      - .offset:         0
        .size:           4
        .value_kind:     by_value
      - .offset:         4
        .size:           4
        .value_kind:     by_value
      - .offset:         8
        .size:           8
        .value_kind:     by_value
      - .actual_access:  read_only
        .address_space:  global
        .offset:         16
        .size:           8
        .value_kind:     global_buffer
      - .actual_access:  read_only
        .address_space:  global
        .offset:         24
        .size:           8
        .value_kind:     global_buffer
      - .address_space:  global
        .offset:         32
        .size:           8
        .value_kind:     global_buffer
      - .address_space:  global
        .offset:         40
        .size:           8
        .value_kind:     global_buffer
      - .offset:         48
        .size:           4
        .value_kind:     by_value
      - .offset:         52
        .size:           4
        .value_kind:     by_value
      - .offset:         56
        .size:           4
        .value_kind:     by_value
      - .offset:         60
        .size:           4
        .value_kind:     by_value
      - .address_space:  global
        .offset:         64
        .size:           8
        .value_kind:     global_buffer
    .group_segment_fixed_size: 0
    .kernarg_segment_align: 8
    .kernarg_segment_size: 72
    .language:       OpenCL C
    .language_version:
      - 2
      - 0
    .max_flat_workgroup_size: 256
    .name:           _ZN9rocsparseL23check_matrix_csr_deviceILj256ELj128EfliEEvT3_S1_T2_PKT1_PKS2_PKS1_S9_21rocsparse_index_base_22rocsparse_matrix_type_20rocsparse_fill_mode_23rocsparse_storage_mode_P22rocsparse_data_status_
    .private_segment_fixed_size: 0
    .sgpr_count:     50
    .sgpr_spill_count: 0
    .symbol:         _ZN9rocsparseL23check_matrix_csr_deviceILj256ELj128EfliEEvT3_S1_T2_PKT1_PKS2_PKS1_S9_21rocsparse_index_base_22rocsparse_matrix_type_20rocsparse_fill_mode_23rocsparse_storage_mode_P22rocsparse_data_status_.kd
    .uniform_work_group_size: 1
    .uses_dynamic_stack: false
    .vgpr_count:     19
    .vgpr_spill_count: 0
    .wavefront_size: 64
  - .args:
      - .offset:         0
        .size:           4
        .value_kind:     by_value
      - .offset:         4
        .size:           4
        .value_kind:     by_value
      - .offset:         8
        .size:           8
        .value_kind:     by_value
      - .actual_access:  read_only
        .address_space:  global
        .offset:         16
        .size:           8
        .value_kind:     global_buffer
      - .actual_access:  read_only
        .address_space:  global
        .offset:         24
        .size:           8
        .value_kind:     global_buffer
      - .address_space:  global
        .offset:         32
        .size:           8
        .value_kind:     global_buffer
      - .address_space:  global
        .offset:         40
        .size:           8
        .value_kind:     global_buffer
      - .offset:         48
        .size:           4
        .value_kind:     by_value
      - .offset:         52
        .size:           4
        .value_kind:     by_value
      - .offset:         56
        .size:           4
        .value_kind:     by_value
      - .offset:         60
        .size:           4
        .value_kind:     by_value
      - .address_space:  global
        .offset:         64
        .size:           8
        .value_kind:     global_buffer
    .group_segment_fixed_size: 0
    .kernarg_segment_align: 8
    .kernarg_segment_size: 72
    .language:       OpenCL C
    .language_version:
      - 2
      - 0
    .max_flat_workgroup_size: 256
    .name:           _ZN9rocsparseL23check_matrix_csr_deviceILj256ELj256EfliEEvT3_S1_T2_PKT1_PKS2_PKS1_S9_21rocsparse_index_base_22rocsparse_matrix_type_20rocsparse_fill_mode_23rocsparse_storage_mode_P22rocsparse_data_status_
    .private_segment_fixed_size: 0
    .sgpr_count:     50
    .sgpr_spill_count: 0
    .symbol:         _ZN9rocsparseL23check_matrix_csr_deviceILj256ELj256EfliEEvT3_S1_T2_PKT1_PKS2_PKS1_S9_21rocsparse_index_base_22rocsparse_matrix_type_20rocsparse_fill_mode_23rocsparse_storage_mode_P22rocsparse_data_status_.kd
    .uniform_work_group_size: 1
    .uses_dynamic_stack: false
    .vgpr_count:     18
    .vgpr_spill_count: 0
    .wavefront_size: 64
  - .args:
      - .offset:         0
        .size:           4
        .value_kind:     by_value
      - .offset:         4
        .size:           4
        .value_kind:     by_value
      - .offset:         8
        .size:           8
        .value_kind:     by_value
      - .actual_access:  read_only
        .address_space:  global
        .offset:         16
        .size:           8
        .value_kind:     global_buffer
      - .actual_access:  read_only
        .address_space:  global
        .offset:         24
        .size:           8
        .value_kind:     global_buffer
      - .address_space:  global
        .offset:         32
        .size:           8
        .value_kind:     global_buffer
      - .address_space:  global
        .offset:         40
        .size:           8
        .value_kind:     global_buffer
      - .offset:         48
        .size:           4
        .value_kind:     by_value
      - .offset:         52
        .size:           4
        .value_kind:     by_value
      - .offset:         56
        .size:           4
        .value_kind:     by_value
      - .offset:         60
        .size:           4
        .value_kind:     by_value
      - .address_space:  global
        .offset:         64
        .size:           8
        .value_kind:     global_buffer
    .group_segment_fixed_size: 0
    .kernarg_segment_align: 8
    .kernarg_segment_size: 72
    .language:       OpenCL C
    .language_version:
      - 2
      - 0
    .max_flat_workgroup_size: 256
    .name:           _ZN9rocsparseL23check_matrix_csr_deviceILj256ELj4EdliEEvT3_S1_T2_PKT1_PKS2_PKS1_S9_21rocsparse_index_base_22rocsparse_matrix_type_20rocsparse_fill_mode_23rocsparse_storage_mode_P22rocsparse_data_status_
    .private_segment_fixed_size: 0
    .sgpr_count:     52
    .sgpr_spill_count: 0
    .symbol:         _ZN9rocsparseL23check_matrix_csr_deviceILj256ELj4EdliEEvT3_S1_T2_PKT1_PKS2_PKS1_S9_21rocsparse_index_base_22rocsparse_matrix_type_20rocsparse_fill_mode_23rocsparse_storage_mode_P22rocsparse_data_status_.kd
    .uniform_work_group_size: 1
    .uses_dynamic_stack: false
    .vgpr_count:     19
    .vgpr_spill_count: 0
    .wavefront_size: 64
  - .args:
      - .offset:         0
        .size:           4
        .value_kind:     by_value
      - .offset:         4
        .size:           4
        .value_kind:     by_value
      - .offset:         8
        .size:           8
        .value_kind:     by_value
      - .actual_access:  read_only
        .address_space:  global
        .offset:         16
        .size:           8
        .value_kind:     global_buffer
      - .actual_access:  read_only
        .address_space:  global
        .offset:         24
        .size:           8
        .value_kind:     global_buffer
      - .address_space:  global
        .offset:         32
        .size:           8
        .value_kind:     global_buffer
      - .address_space:  global
        .offset:         40
        .size:           8
        .value_kind:     global_buffer
      - .offset:         48
        .size:           4
        .value_kind:     by_value
      - .offset:         52
        .size:           4
        .value_kind:     by_value
      - .offset:         56
        .size:           4
        .value_kind:     by_value
      - .offset:         60
        .size:           4
        .value_kind:     by_value
      - .address_space:  global
        .offset:         64
        .size:           8
        .value_kind:     global_buffer
    .group_segment_fixed_size: 0
    .kernarg_segment_align: 8
    .kernarg_segment_size: 72
    .language:       OpenCL C
    .language_version:
      - 2
      - 0
    .max_flat_workgroup_size: 256
    .name:           _ZN9rocsparseL23check_matrix_csr_deviceILj256ELj8EdliEEvT3_S1_T2_PKT1_PKS2_PKS1_S9_21rocsparse_index_base_22rocsparse_matrix_type_20rocsparse_fill_mode_23rocsparse_storage_mode_P22rocsparse_data_status_
    .private_segment_fixed_size: 0
    .sgpr_count:     52
    .sgpr_spill_count: 0
    .symbol:         _ZN9rocsparseL23check_matrix_csr_deviceILj256ELj8EdliEEvT3_S1_T2_PKT1_PKS2_PKS1_S9_21rocsparse_index_base_22rocsparse_matrix_type_20rocsparse_fill_mode_23rocsparse_storage_mode_P22rocsparse_data_status_.kd
    .uniform_work_group_size: 1
    .uses_dynamic_stack: false
    .vgpr_count:     19
    .vgpr_spill_count: 0
    .wavefront_size: 64
  - .args:
      - .offset:         0
        .size:           4
        .value_kind:     by_value
      - .offset:         4
        .size:           4
        .value_kind:     by_value
      - .offset:         8
        .size:           8
        .value_kind:     by_value
      - .actual_access:  read_only
        .address_space:  global
        .offset:         16
        .size:           8
        .value_kind:     global_buffer
      - .actual_access:  read_only
        .address_space:  global
        .offset:         24
        .size:           8
        .value_kind:     global_buffer
      - .address_space:  global
        .offset:         32
        .size:           8
        .value_kind:     global_buffer
      - .address_space:  global
        .offset:         40
        .size:           8
        .value_kind:     global_buffer
      - .offset:         48
        .size:           4
        .value_kind:     by_value
      - .offset:         52
        .size:           4
        .value_kind:     by_value
      - .offset:         56
        .size:           4
        .value_kind:     by_value
      - .offset:         60
        .size:           4
        .value_kind:     by_value
      - .address_space:  global
        .offset:         64
        .size:           8
        .value_kind:     global_buffer
    .group_segment_fixed_size: 0
    .kernarg_segment_align: 8
    .kernarg_segment_size: 72
    .language:       OpenCL C
    .language_version:
      - 2
      - 0
    .max_flat_workgroup_size: 256
    .name:           _ZN9rocsparseL23check_matrix_csr_deviceILj256ELj16EdliEEvT3_S1_T2_PKT1_PKS2_PKS1_S9_21rocsparse_index_base_22rocsparse_matrix_type_20rocsparse_fill_mode_23rocsparse_storage_mode_P22rocsparse_data_status_
    .private_segment_fixed_size: 0
    .sgpr_count:     52
    .sgpr_spill_count: 0
    .symbol:         _ZN9rocsparseL23check_matrix_csr_deviceILj256ELj16EdliEEvT3_S1_T2_PKT1_PKS2_PKS1_S9_21rocsparse_index_base_22rocsparse_matrix_type_20rocsparse_fill_mode_23rocsparse_storage_mode_P22rocsparse_data_status_.kd
    .uniform_work_group_size: 1
    .uses_dynamic_stack: false
    .vgpr_count:     19
    .vgpr_spill_count: 0
    .wavefront_size: 64
  - .args:
      - .offset:         0
        .size:           4
        .value_kind:     by_value
      - .offset:         4
        .size:           4
        .value_kind:     by_value
      - .offset:         8
        .size:           8
        .value_kind:     by_value
      - .actual_access:  read_only
        .address_space:  global
        .offset:         16
        .size:           8
        .value_kind:     global_buffer
      - .actual_access:  read_only
        .address_space:  global
        .offset:         24
        .size:           8
        .value_kind:     global_buffer
      - .address_space:  global
        .offset:         32
        .size:           8
        .value_kind:     global_buffer
      - .address_space:  global
        .offset:         40
        .size:           8
        .value_kind:     global_buffer
      - .offset:         48
        .size:           4
        .value_kind:     by_value
      - .offset:         52
        .size:           4
        .value_kind:     by_value
      - .offset:         56
        .size:           4
        .value_kind:     by_value
      - .offset:         60
        .size:           4
        .value_kind:     by_value
      - .address_space:  global
        .offset:         64
        .size:           8
        .value_kind:     global_buffer
    .group_segment_fixed_size: 0
    .kernarg_segment_align: 8
    .kernarg_segment_size: 72
    .language:       OpenCL C
    .language_version:
      - 2
      - 0
    .max_flat_workgroup_size: 256
    .name:           _ZN9rocsparseL23check_matrix_csr_deviceILj256ELj32EdliEEvT3_S1_T2_PKT1_PKS2_PKS1_S9_21rocsparse_index_base_22rocsparse_matrix_type_20rocsparse_fill_mode_23rocsparse_storage_mode_P22rocsparse_data_status_
    .private_segment_fixed_size: 0
    .sgpr_count:     52
    .sgpr_spill_count: 0
    .symbol:         _ZN9rocsparseL23check_matrix_csr_deviceILj256ELj32EdliEEvT3_S1_T2_PKT1_PKS2_PKS1_S9_21rocsparse_index_base_22rocsparse_matrix_type_20rocsparse_fill_mode_23rocsparse_storage_mode_P22rocsparse_data_status_.kd
    .uniform_work_group_size: 1
    .uses_dynamic_stack: false
    .vgpr_count:     19
    .vgpr_spill_count: 0
    .wavefront_size: 64
  - .args:
      - .offset:         0
        .size:           4
        .value_kind:     by_value
      - .offset:         4
        .size:           4
        .value_kind:     by_value
      - .offset:         8
        .size:           8
        .value_kind:     by_value
      - .actual_access:  read_only
        .address_space:  global
        .offset:         16
        .size:           8
        .value_kind:     global_buffer
      - .actual_access:  read_only
        .address_space:  global
        .offset:         24
        .size:           8
        .value_kind:     global_buffer
      - .address_space:  global
        .offset:         32
        .size:           8
        .value_kind:     global_buffer
      - .address_space:  global
        .offset:         40
        .size:           8
        .value_kind:     global_buffer
      - .offset:         48
        .size:           4
        .value_kind:     by_value
      - .offset:         52
        .size:           4
        .value_kind:     by_value
      - .offset:         56
        .size:           4
        .value_kind:     by_value
      - .offset:         60
        .size:           4
        .value_kind:     by_value
      - .address_space:  global
        .offset:         64
        .size:           8
        .value_kind:     global_buffer
    .group_segment_fixed_size: 0
    .kernarg_segment_align: 8
    .kernarg_segment_size: 72
    .language:       OpenCL C
    .language_version:
      - 2
      - 0
    .max_flat_workgroup_size: 256
    .name:           _ZN9rocsparseL23check_matrix_csr_deviceILj256ELj64EdliEEvT3_S1_T2_PKT1_PKS2_PKS1_S9_21rocsparse_index_base_22rocsparse_matrix_type_20rocsparse_fill_mode_23rocsparse_storage_mode_P22rocsparse_data_status_
    .private_segment_fixed_size: 0
    .sgpr_count:     52
    .sgpr_spill_count: 0
    .symbol:         _ZN9rocsparseL23check_matrix_csr_deviceILj256ELj64EdliEEvT3_S1_T2_PKT1_PKS2_PKS1_S9_21rocsparse_index_base_22rocsparse_matrix_type_20rocsparse_fill_mode_23rocsparse_storage_mode_P22rocsparse_data_status_.kd
    .uniform_work_group_size: 1
    .uses_dynamic_stack: false
    .vgpr_count:     19
    .vgpr_spill_count: 0
    .wavefront_size: 64
  - .args:
      - .offset:         0
        .size:           4
        .value_kind:     by_value
      - .offset:         4
        .size:           4
        .value_kind:     by_value
      - .offset:         8
        .size:           8
        .value_kind:     by_value
      - .actual_access:  read_only
        .address_space:  global
        .offset:         16
        .size:           8
        .value_kind:     global_buffer
      - .actual_access:  read_only
        .address_space:  global
        .offset:         24
        .size:           8
        .value_kind:     global_buffer
      - .address_space:  global
        .offset:         32
        .size:           8
        .value_kind:     global_buffer
      - .address_space:  global
        .offset:         40
        .size:           8
        .value_kind:     global_buffer
      - .offset:         48
        .size:           4
        .value_kind:     by_value
      - .offset:         52
        .size:           4
        .value_kind:     by_value
      - .offset:         56
        .size:           4
        .value_kind:     by_value
      - .offset:         60
        .size:           4
        .value_kind:     by_value
      - .address_space:  global
        .offset:         64
        .size:           8
        .value_kind:     global_buffer
    .group_segment_fixed_size: 0
    .kernarg_segment_align: 8
    .kernarg_segment_size: 72
    .language:       OpenCL C
    .language_version:
      - 2
      - 0
    .max_flat_workgroup_size: 256
    .name:           _ZN9rocsparseL23check_matrix_csr_deviceILj256ELj128EdliEEvT3_S1_T2_PKT1_PKS2_PKS1_S9_21rocsparse_index_base_22rocsparse_matrix_type_20rocsparse_fill_mode_23rocsparse_storage_mode_P22rocsparse_data_status_
    .private_segment_fixed_size: 0
    .sgpr_count:     52
    .sgpr_spill_count: 0
    .symbol:         _ZN9rocsparseL23check_matrix_csr_deviceILj256ELj128EdliEEvT3_S1_T2_PKT1_PKS2_PKS1_S9_21rocsparse_index_base_22rocsparse_matrix_type_20rocsparse_fill_mode_23rocsparse_storage_mode_P22rocsparse_data_status_.kd
    .uniform_work_group_size: 1
    .uses_dynamic_stack: false
    .vgpr_count:     19
    .vgpr_spill_count: 0
    .wavefront_size: 64
  - .args:
      - .offset:         0
        .size:           4
        .value_kind:     by_value
      - .offset:         4
        .size:           4
        .value_kind:     by_value
      - .offset:         8
        .size:           8
        .value_kind:     by_value
      - .actual_access:  read_only
        .address_space:  global
        .offset:         16
        .size:           8
        .value_kind:     global_buffer
      - .actual_access:  read_only
        .address_space:  global
        .offset:         24
        .size:           8
        .value_kind:     global_buffer
      - .address_space:  global
        .offset:         32
        .size:           8
        .value_kind:     global_buffer
      - .address_space:  global
        .offset:         40
        .size:           8
        .value_kind:     global_buffer
      - .offset:         48
        .size:           4
        .value_kind:     by_value
      - .offset:         52
        .size:           4
        .value_kind:     by_value
      - .offset:         56
        .size:           4
        .value_kind:     by_value
      - .offset:         60
        .size:           4
        .value_kind:     by_value
      - .address_space:  global
        .offset:         64
        .size:           8
        .value_kind:     global_buffer
    .group_segment_fixed_size: 0
    .kernarg_segment_align: 8
    .kernarg_segment_size: 72
    .language:       OpenCL C
    .language_version:
      - 2
      - 0
    .max_flat_workgroup_size: 256
    .name:           _ZN9rocsparseL23check_matrix_csr_deviceILj256ELj256EdliEEvT3_S1_T2_PKT1_PKS2_PKS1_S9_21rocsparse_index_base_22rocsparse_matrix_type_20rocsparse_fill_mode_23rocsparse_storage_mode_P22rocsparse_data_status_
    .private_segment_fixed_size: 0
    .sgpr_count:     52
    .sgpr_spill_count: 0
    .symbol:         _ZN9rocsparseL23check_matrix_csr_deviceILj256ELj256EdliEEvT3_S1_T2_PKT1_PKS2_PKS1_S9_21rocsparse_index_base_22rocsparse_matrix_type_20rocsparse_fill_mode_23rocsparse_storage_mode_P22rocsparse_data_status_.kd
    .uniform_work_group_size: 1
    .uses_dynamic_stack: false
    .vgpr_count:     18
    .vgpr_spill_count: 0
    .wavefront_size: 64
  - .args:
      - .offset:         0
        .size:           4
        .value_kind:     by_value
      - .offset:         4
        .size:           4
        .value_kind:     by_value
      - .offset:         8
        .size:           8
        .value_kind:     by_value
      - .actual_access:  read_only
        .address_space:  global
        .offset:         16
        .size:           8
        .value_kind:     global_buffer
      - .actual_access:  read_only
        .address_space:  global
        .offset:         24
        .size:           8
        .value_kind:     global_buffer
      - .address_space:  global
        .offset:         32
        .size:           8
        .value_kind:     global_buffer
      - .address_space:  global
        .offset:         40
        .size:           8
        .value_kind:     global_buffer
      - .offset:         48
        .size:           4
        .value_kind:     by_value
      - .offset:         52
        .size:           4
        .value_kind:     by_value
      - .offset:         56
        .size:           4
        .value_kind:     by_value
      - .offset:         60
        .size:           4
        .value_kind:     by_value
      - .address_space:  global
        .offset:         64
        .size:           8
        .value_kind:     global_buffer
    .group_segment_fixed_size: 0
    .kernarg_segment_align: 8
    .kernarg_segment_size: 72
    .language:       OpenCL C
    .language_version:
      - 2
      - 0
    .max_flat_workgroup_size: 256
    .name:           _ZN9rocsparseL23check_matrix_csr_deviceILj256ELj4E21rocsparse_complex_numIfEliEEvT3_S3_T2_PKT1_PKS4_PKS3_SB_21rocsparse_index_base_22rocsparse_matrix_type_20rocsparse_fill_mode_23rocsparse_storage_mode_P22rocsparse_data_status_
    .private_segment_fixed_size: 0
    .sgpr_count:     50
    .sgpr_spill_count: 0
    .symbol:         _ZN9rocsparseL23check_matrix_csr_deviceILj256ELj4E21rocsparse_complex_numIfEliEEvT3_S3_T2_PKT1_PKS4_PKS3_SB_21rocsparse_index_base_22rocsparse_matrix_type_20rocsparse_fill_mode_23rocsparse_storage_mode_P22rocsparse_data_status_.kd
    .uniform_work_group_size: 1
    .uses_dynamic_stack: false
    .vgpr_count:     19
    .vgpr_spill_count: 0
    .wavefront_size: 64
  - .args:
      - .offset:         0
        .size:           4
        .value_kind:     by_value
      - .offset:         4
        .size:           4
        .value_kind:     by_value
      - .offset:         8
        .size:           8
        .value_kind:     by_value
      - .actual_access:  read_only
        .address_space:  global
        .offset:         16
        .size:           8
        .value_kind:     global_buffer
      - .actual_access:  read_only
        .address_space:  global
        .offset:         24
        .size:           8
        .value_kind:     global_buffer
      - .address_space:  global
        .offset:         32
        .size:           8
        .value_kind:     global_buffer
      - .address_space:  global
        .offset:         40
        .size:           8
        .value_kind:     global_buffer
      - .offset:         48
        .size:           4
        .value_kind:     by_value
      - .offset:         52
        .size:           4
        .value_kind:     by_value
      - .offset:         56
        .size:           4
        .value_kind:     by_value
      - .offset:         60
        .size:           4
        .value_kind:     by_value
      - .address_space:  global
        .offset:         64
        .size:           8
        .value_kind:     global_buffer
    .group_segment_fixed_size: 0
    .kernarg_segment_align: 8
    .kernarg_segment_size: 72
    .language:       OpenCL C
    .language_version:
      - 2
      - 0
    .max_flat_workgroup_size: 256
    .name:           _ZN9rocsparseL23check_matrix_csr_deviceILj256ELj8E21rocsparse_complex_numIfEliEEvT3_S3_T2_PKT1_PKS4_PKS3_SB_21rocsparse_index_base_22rocsparse_matrix_type_20rocsparse_fill_mode_23rocsparse_storage_mode_P22rocsparse_data_status_
    .private_segment_fixed_size: 0
    .sgpr_count:     50
    .sgpr_spill_count: 0
    .symbol:         _ZN9rocsparseL23check_matrix_csr_deviceILj256ELj8E21rocsparse_complex_numIfEliEEvT3_S3_T2_PKT1_PKS4_PKS3_SB_21rocsparse_index_base_22rocsparse_matrix_type_20rocsparse_fill_mode_23rocsparse_storage_mode_P22rocsparse_data_status_.kd
    .uniform_work_group_size: 1
    .uses_dynamic_stack: false
    .vgpr_count:     19
    .vgpr_spill_count: 0
    .wavefront_size: 64
  - .args:
      - .offset:         0
        .size:           4
        .value_kind:     by_value
      - .offset:         4
        .size:           4
        .value_kind:     by_value
      - .offset:         8
        .size:           8
        .value_kind:     by_value
      - .actual_access:  read_only
        .address_space:  global
        .offset:         16
        .size:           8
        .value_kind:     global_buffer
      - .actual_access:  read_only
        .address_space:  global
        .offset:         24
        .size:           8
        .value_kind:     global_buffer
      - .address_space:  global
        .offset:         32
        .size:           8
        .value_kind:     global_buffer
      - .address_space:  global
        .offset:         40
        .size:           8
        .value_kind:     global_buffer
      - .offset:         48
        .size:           4
        .value_kind:     by_value
      - .offset:         52
        .size:           4
        .value_kind:     by_value
      - .offset:         56
        .size:           4
        .value_kind:     by_value
      - .offset:         60
        .size:           4
        .value_kind:     by_value
      - .address_space:  global
        .offset:         64
        .size:           8
        .value_kind:     global_buffer
    .group_segment_fixed_size: 0
    .kernarg_segment_align: 8
    .kernarg_segment_size: 72
    .language:       OpenCL C
    .language_version:
      - 2
      - 0
    .max_flat_workgroup_size: 256
    .name:           _ZN9rocsparseL23check_matrix_csr_deviceILj256ELj16E21rocsparse_complex_numIfEliEEvT3_S3_T2_PKT1_PKS4_PKS3_SB_21rocsparse_index_base_22rocsparse_matrix_type_20rocsparse_fill_mode_23rocsparse_storage_mode_P22rocsparse_data_status_
    .private_segment_fixed_size: 0
    .sgpr_count:     50
    .sgpr_spill_count: 0
    .symbol:         _ZN9rocsparseL23check_matrix_csr_deviceILj256ELj16E21rocsparse_complex_numIfEliEEvT3_S3_T2_PKT1_PKS4_PKS3_SB_21rocsparse_index_base_22rocsparse_matrix_type_20rocsparse_fill_mode_23rocsparse_storage_mode_P22rocsparse_data_status_.kd
    .uniform_work_group_size: 1
    .uses_dynamic_stack: false
    .vgpr_count:     19
    .vgpr_spill_count: 0
    .wavefront_size: 64
  - .args:
      - .offset:         0
        .size:           4
        .value_kind:     by_value
      - .offset:         4
        .size:           4
        .value_kind:     by_value
      - .offset:         8
        .size:           8
        .value_kind:     by_value
      - .actual_access:  read_only
        .address_space:  global
        .offset:         16
        .size:           8
        .value_kind:     global_buffer
      - .actual_access:  read_only
        .address_space:  global
        .offset:         24
        .size:           8
        .value_kind:     global_buffer
      - .address_space:  global
        .offset:         32
        .size:           8
        .value_kind:     global_buffer
      - .address_space:  global
        .offset:         40
        .size:           8
        .value_kind:     global_buffer
      - .offset:         48
        .size:           4
        .value_kind:     by_value
      - .offset:         52
        .size:           4
        .value_kind:     by_value
      - .offset:         56
        .size:           4
        .value_kind:     by_value
      - .offset:         60
        .size:           4
        .value_kind:     by_value
      - .address_space:  global
        .offset:         64
        .size:           8
        .value_kind:     global_buffer
    .group_segment_fixed_size: 0
    .kernarg_segment_align: 8
    .kernarg_segment_size: 72
    .language:       OpenCL C
    .language_version:
      - 2
      - 0
    .max_flat_workgroup_size: 256
    .name:           _ZN9rocsparseL23check_matrix_csr_deviceILj256ELj32E21rocsparse_complex_numIfEliEEvT3_S3_T2_PKT1_PKS4_PKS3_SB_21rocsparse_index_base_22rocsparse_matrix_type_20rocsparse_fill_mode_23rocsparse_storage_mode_P22rocsparse_data_status_
    .private_segment_fixed_size: 0
    .sgpr_count:     50
    .sgpr_spill_count: 0
    .symbol:         _ZN9rocsparseL23check_matrix_csr_deviceILj256ELj32E21rocsparse_complex_numIfEliEEvT3_S3_T2_PKT1_PKS4_PKS3_SB_21rocsparse_index_base_22rocsparse_matrix_type_20rocsparse_fill_mode_23rocsparse_storage_mode_P22rocsparse_data_status_.kd
    .uniform_work_group_size: 1
    .uses_dynamic_stack: false
    .vgpr_count:     19
    .vgpr_spill_count: 0
    .wavefront_size: 64
  - .args:
      - .offset:         0
        .size:           4
        .value_kind:     by_value
      - .offset:         4
        .size:           4
        .value_kind:     by_value
      - .offset:         8
        .size:           8
        .value_kind:     by_value
      - .actual_access:  read_only
        .address_space:  global
        .offset:         16
        .size:           8
        .value_kind:     global_buffer
      - .actual_access:  read_only
        .address_space:  global
        .offset:         24
        .size:           8
        .value_kind:     global_buffer
      - .address_space:  global
        .offset:         32
        .size:           8
        .value_kind:     global_buffer
      - .address_space:  global
        .offset:         40
        .size:           8
        .value_kind:     global_buffer
      - .offset:         48
        .size:           4
        .value_kind:     by_value
      - .offset:         52
        .size:           4
        .value_kind:     by_value
      - .offset:         56
        .size:           4
        .value_kind:     by_value
      - .offset:         60
        .size:           4
        .value_kind:     by_value
      - .address_space:  global
        .offset:         64
        .size:           8
        .value_kind:     global_buffer
    .group_segment_fixed_size: 0
    .kernarg_segment_align: 8
    .kernarg_segment_size: 72
    .language:       OpenCL C
    .language_version:
      - 2
      - 0
    .max_flat_workgroup_size: 256
    .name:           _ZN9rocsparseL23check_matrix_csr_deviceILj256ELj64E21rocsparse_complex_numIfEliEEvT3_S3_T2_PKT1_PKS4_PKS3_SB_21rocsparse_index_base_22rocsparse_matrix_type_20rocsparse_fill_mode_23rocsparse_storage_mode_P22rocsparse_data_status_
    .private_segment_fixed_size: 0
    .sgpr_count:     50
    .sgpr_spill_count: 0
    .symbol:         _ZN9rocsparseL23check_matrix_csr_deviceILj256ELj64E21rocsparse_complex_numIfEliEEvT3_S3_T2_PKT1_PKS4_PKS3_SB_21rocsparse_index_base_22rocsparse_matrix_type_20rocsparse_fill_mode_23rocsparse_storage_mode_P22rocsparse_data_status_.kd
    .uniform_work_group_size: 1
    .uses_dynamic_stack: false
    .vgpr_count:     19
    .vgpr_spill_count: 0
    .wavefront_size: 64
  - .args:
      - .offset:         0
        .size:           4
        .value_kind:     by_value
      - .offset:         4
        .size:           4
        .value_kind:     by_value
      - .offset:         8
        .size:           8
        .value_kind:     by_value
      - .actual_access:  read_only
        .address_space:  global
        .offset:         16
        .size:           8
        .value_kind:     global_buffer
      - .actual_access:  read_only
        .address_space:  global
        .offset:         24
        .size:           8
        .value_kind:     global_buffer
      - .address_space:  global
        .offset:         32
        .size:           8
        .value_kind:     global_buffer
      - .address_space:  global
        .offset:         40
        .size:           8
        .value_kind:     global_buffer
      - .offset:         48
        .size:           4
        .value_kind:     by_value
      - .offset:         52
        .size:           4
        .value_kind:     by_value
      - .offset:         56
        .size:           4
        .value_kind:     by_value
      - .offset:         60
        .size:           4
        .value_kind:     by_value
      - .address_space:  global
        .offset:         64
        .size:           8
        .value_kind:     global_buffer
    .group_segment_fixed_size: 0
    .kernarg_segment_align: 8
    .kernarg_segment_size: 72
    .language:       OpenCL C
    .language_version:
      - 2
      - 0
    .max_flat_workgroup_size: 256
    .name:           _ZN9rocsparseL23check_matrix_csr_deviceILj256ELj128E21rocsparse_complex_numIfEliEEvT3_S3_T2_PKT1_PKS4_PKS3_SB_21rocsparse_index_base_22rocsparse_matrix_type_20rocsparse_fill_mode_23rocsparse_storage_mode_P22rocsparse_data_status_
    .private_segment_fixed_size: 0
    .sgpr_count:     50
    .sgpr_spill_count: 0
    .symbol:         _ZN9rocsparseL23check_matrix_csr_deviceILj256ELj128E21rocsparse_complex_numIfEliEEvT3_S3_T2_PKT1_PKS4_PKS3_SB_21rocsparse_index_base_22rocsparse_matrix_type_20rocsparse_fill_mode_23rocsparse_storage_mode_P22rocsparse_data_status_.kd
    .uniform_work_group_size: 1
    .uses_dynamic_stack: false
    .vgpr_count:     19
    .vgpr_spill_count: 0
    .wavefront_size: 64
  - .args:
      - .offset:         0
        .size:           4
        .value_kind:     by_value
      - .offset:         4
        .size:           4
        .value_kind:     by_value
      - .offset:         8
        .size:           8
        .value_kind:     by_value
      - .actual_access:  read_only
        .address_space:  global
        .offset:         16
        .size:           8
        .value_kind:     global_buffer
      - .actual_access:  read_only
        .address_space:  global
        .offset:         24
        .size:           8
        .value_kind:     global_buffer
      - .address_space:  global
        .offset:         32
        .size:           8
        .value_kind:     global_buffer
      - .address_space:  global
        .offset:         40
        .size:           8
        .value_kind:     global_buffer
      - .offset:         48
        .size:           4
        .value_kind:     by_value
      - .offset:         52
        .size:           4
        .value_kind:     by_value
      - .offset:         56
        .size:           4
        .value_kind:     by_value
      - .offset:         60
        .size:           4
        .value_kind:     by_value
      - .address_space:  global
        .offset:         64
        .size:           8
        .value_kind:     global_buffer
    .group_segment_fixed_size: 0
    .kernarg_segment_align: 8
    .kernarg_segment_size: 72
    .language:       OpenCL C
    .language_version:
      - 2
      - 0
    .max_flat_workgroup_size: 256
    .name:           _ZN9rocsparseL23check_matrix_csr_deviceILj256ELj256E21rocsparse_complex_numIfEliEEvT3_S3_T2_PKT1_PKS4_PKS3_SB_21rocsparse_index_base_22rocsparse_matrix_type_20rocsparse_fill_mode_23rocsparse_storage_mode_P22rocsparse_data_status_
    .private_segment_fixed_size: 0
    .sgpr_count:     50
    .sgpr_spill_count: 0
    .symbol:         _ZN9rocsparseL23check_matrix_csr_deviceILj256ELj256E21rocsparse_complex_numIfEliEEvT3_S3_T2_PKT1_PKS4_PKS3_SB_21rocsparse_index_base_22rocsparse_matrix_type_20rocsparse_fill_mode_23rocsparse_storage_mode_P22rocsparse_data_status_.kd
    .uniform_work_group_size: 1
    .uses_dynamic_stack: false
    .vgpr_count:     18
    .vgpr_spill_count: 0
    .wavefront_size: 64
  - .args:
      - .offset:         0
        .size:           4
        .value_kind:     by_value
      - .offset:         4
        .size:           4
        .value_kind:     by_value
      - .offset:         8
        .size:           8
        .value_kind:     by_value
      - .actual_access:  read_only
        .address_space:  global
        .offset:         16
        .size:           8
        .value_kind:     global_buffer
      - .actual_access:  read_only
        .address_space:  global
        .offset:         24
        .size:           8
        .value_kind:     global_buffer
      - .address_space:  global
        .offset:         32
        .size:           8
        .value_kind:     global_buffer
      - .address_space:  global
        .offset:         40
        .size:           8
        .value_kind:     global_buffer
      - .offset:         48
        .size:           4
        .value_kind:     by_value
      - .offset:         52
        .size:           4
        .value_kind:     by_value
      - .offset:         56
        .size:           4
        .value_kind:     by_value
      - .offset:         60
        .size:           4
        .value_kind:     by_value
      - .address_space:  global
        .offset:         64
        .size:           8
        .value_kind:     global_buffer
    .group_segment_fixed_size: 0
    .kernarg_segment_align: 8
    .kernarg_segment_size: 72
    .language:       OpenCL C
    .language_version:
      - 2
      - 0
    .max_flat_workgroup_size: 256
    .name:           _ZN9rocsparseL23check_matrix_csr_deviceILj256ELj4E21rocsparse_complex_numIdEliEEvT3_S3_T2_PKT1_PKS4_PKS3_SB_21rocsparse_index_base_22rocsparse_matrix_type_20rocsparse_fill_mode_23rocsparse_storage_mode_P22rocsparse_data_status_
    .private_segment_fixed_size: 0
    .sgpr_count:     52
    .sgpr_spill_count: 0
    .symbol:         _ZN9rocsparseL23check_matrix_csr_deviceILj256ELj4E21rocsparse_complex_numIdEliEEvT3_S3_T2_PKT1_PKS4_PKS3_SB_21rocsparse_index_base_22rocsparse_matrix_type_20rocsparse_fill_mode_23rocsparse_storage_mode_P22rocsparse_data_status_.kd
    .uniform_work_group_size: 1
    .uses_dynamic_stack: false
    .vgpr_count:     20
    .vgpr_spill_count: 0
    .wavefront_size: 64
  - .args:
      - .offset:         0
        .size:           4
        .value_kind:     by_value
      - .offset:         4
        .size:           4
        .value_kind:     by_value
      - .offset:         8
        .size:           8
        .value_kind:     by_value
      - .actual_access:  read_only
        .address_space:  global
        .offset:         16
        .size:           8
        .value_kind:     global_buffer
      - .actual_access:  read_only
        .address_space:  global
        .offset:         24
        .size:           8
        .value_kind:     global_buffer
      - .address_space:  global
        .offset:         32
        .size:           8
        .value_kind:     global_buffer
      - .address_space:  global
        .offset:         40
        .size:           8
        .value_kind:     global_buffer
      - .offset:         48
        .size:           4
        .value_kind:     by_value
      - .offset:         52
        .size:           4
        .value_kind:     by_value
      - .offset:         56
        .size:           4
        .value_kind:     by_value
      - .offset:         60
        .size:           4
        .value_kind:     by_value
      - .address_space:  global
        .offset:         64
        .size:           8
        .value_kind:     global_buffer
    .group_segment_fixed_size: 0
    .kernarg_segment_align: 8
    .kernarg_segment_size: 72
    .language:       OpenCL C
    .language_version:
      - 2
      - 0
    .max_flat_workgroup_size: 256
    .name:           _ZN9rocsparseL23check_matrix_csr_deviceILj256ELj8E21rocsparse_complex_numIdEliEEvT3_S3_T2_PKT1_PKS4_PKS3_SB_21rocsparse_index_base_22rocsparse_matrix_type_20rocsparse_fill_mode_23rocsparse_storage_mode_P22rocsparse_data_status_
    .private_segment_fixed_size: 0
    .sgpr_count:     52
    .sgpr_spill_count: 0
    .symbol:         _ZN9rocsparseL23check_matrix_csr_deviceILj256ELj8E21rocsparse_complex_numIdEliEEvT3_S3_T2_PKT1_PKS4_PKS3_SB_21rocsparse_index_base_22rocsparse_matrix_type_20rocsparse_fill_mode_23rocsparse_storage_mode_P22rocsparse_data_status_.kd
    .uniform_work_group_size: 1
    .uses_dynamic_stack: false
    .vgpr_count:     20
    .vgpr_spill_count: 0
    .wavefront_size: 64
  - .args:
      - .offset:         0
        .size:           4
        .value_kind:     by_value
      - .offset:         4
        .size:           4
        .value_kind:     by_value
      - .offset:         8
        .size:           8
        .value_kind:     by_value
      - .actual_access:  read_only
        .address_space:  global
        .offset:         16
        .size:           8
        .value_kind:     global_buffer
      - .actual_access:  read_only
        .address_space:  global
        .offset:         24
        .size:           8
        .value_kind:     global_buffer
      - .address_space:  global
        .offset:         32
        .size:           8
        .value_kind:     global_buffer
      - .address_space:  global
        .offset:         40
        .size:           8
        .value_kind:     global_buffer
      - .offset:         48
        .size:           4
        .value_kind:     by_value
      - .offset:         52
        .size:           4
        .value_kind:     by_value
      - .offset:         56
        .size:           4
        .value_kind:     by_value
      - .offset:         60
        .size:           4
        .value_kind:     by_value
      - .address_space:  global
        .offset:         64
        .size:           8
        .value_kind:     global_buffer
    .group_segment_fixed_size: 0
    .kernarg_segment_align: 8
    .kernarg_segment_size: 72
    .language:       OpenCL C
    .language_version:
      - 2
      - 0
    .max_flat_workgroup_size: 256
    .name:           _ZN9rocsparseL23check_matrix_csr_deviceILj256ELj16E21rocsparse_complex_numIdEliEEvT3_S3_T2_PKT1_PKS4_PKS3_SB_21rocsparse_index_base_22rocsparse_matrix_type_20rocsparse_fill_mode_23rocsparse_storage_mode_P22rocsparse_data_status_
    .private_segment_fixed_size: 0
    .sgpr_count:     52
    .sgpr_spill_count: 0
    .symbol:         _ZN9rocsparseL23check_matrix_csr_deviceILj256ELj16E21rocsparse_complex_numIdEliEEvT3_S3_T2_PKT1_PKS4_PKS3_SB_21rocsparse_index_base_22rocsparse_matrix_type_20rocsparse_fill_mode_23rocsparse_storage_mode_P22rocsparse_data_status_.kd
    .uniform_work_group_size: 1
    .uses_dynamic_stack: false
    .vgpr_count:     20
    .vgpr_spill_count: 0
    .wavefront_size: 64
  - .args:
      - .offset:         0
        .size:           4
        .value_kind:     by_value
      - .offset:         4
        .size:           4
        .value_kind:     by_value
      - .offset:         8
        .size:           8
        .value_kind:     by_value
      - .actual_access:  read_only
        .address_space:  global
        .offset:         16
        .size:           8
        .value_kind:     global_buffer
      - .actual_access:  read_only
        .address_space:  global
        .offset:         24
        .size:           8
        .value_kind:     global_buffer
      - .address_space:  global
        .offset:         32
        .size:           8
        .value_kind:     global_buffer
      - .address_space:  global
        .offset:         40
        .size:           8
        .value_kind:     global_buffer
      - .offset:         48
        .size:           4
        .value_kind:     by_value
      - .offset:         52
        .size:           4
        .value_kind:     by_value
      - .offset:         56
        .size:           4
        .value_kind:     by_value
      - .offset:         60
        .size:           4
        .value_kind:     by_value
      - .address_space:  global
        .offset:         64
        .size:           8
        .value_kind:     global_buffer
    .group_segment_fixed_size: 0
    .kernarg_segment_align: 8
    .kernarg_segment_size: 72
    .language:       OpenCL C
    .language_version:
      - 2
      - 0
    .max_flat_workgroup_size: 256
    .name:           _ZN9rocsparseL23check_matrix_csr_deviceILj256ELj32E21rocsparse_complex_numIdEliEEvT3_S3_T2_PKT1_PKS4_PKS3_SB_21rocsparse_index_base_22rocsparse_matrix_type_20rocsparse_fill_mode_23rocsparse_storage_mode_P22rocsparse_data_status_
    .private_segment_fixed_size: 0
    .sgpr_count:     52
    .sgpr_spill_count: 0
    .symbol:         _ZN9rocsparseL23check_matrix_csr_deviceILj256ELj32E21rocsparse_complex_numIdEliEEvT3_S3_T2_PKT1_PKS4_PKS3_SB_21rocsparse_index_base_22rocsparse_matrix_type_20rocsparse_fill_mode_23rocsparse_storage_mode_P22rocsparse_data_status_.kd
    .uniform_work_group_size: 1
    .uses_dynamic_stack: false
    .vgpr_count:     20
    .vgpr_spill_count: 0
    .wavefront_size: 64
  - .args:
      - .offset:         0
        .size:           4
        .value_kind:     by_value
      - .offset:         4
        .size:           4
        .value_kind:     by_value
      - .offset:         8
        .size:           8
        .value_kind:     by_value
      - .actual_access:  read_only
        .address_space:  global
        .offset:         16
        .size:           8
        .value_kind:     global_buffer
      - .actual_access:  read_only
        .address_space:  global
        .offset:         24
        .size:           8
        .value_kind:     global_buffer
      - .address_space:  global
        .offset:         32
        .size:           8
        .value_kind:     global_buffer
      - .address_space:  global
        .offset:         40
        .size:           8
        .value_kind:     global_buffer
      - .offset:         48
        .size:           4
        .value_kind:     by_value
      - .offset:         52
        .size:           4
        .value_kind:     by_value
      - .offset:         56
        .size:           4
        .value_kind:     by_value
      - .offset:         60
        .size:           4
        .value_kind:     by_value
      - .address_space:  global
        .offset:         64
        .size:           8
        .value_kind:     global_buffer
    .group_segment_fixed_size: 0
    .kernarg_segment_align: 8
    .kernarg_segment_size: 72
    .language:       OpenCL C
    .language_version:
      - 2
      - 0
    .max_flat_workgroup_size: 256
    .name:           _ZN9rocsparseL23check_matrix_csr_deviceILj256ELj64E21rocsparse_complex_numIdEliEEvT3_S3_T2_PKT1_PKS4_PKS3_SB_21rocsparse_index_base_22rocsparse_matrix_type_20rocsparse_fill_mode_23rocsparse_storage_mode_P22rocsparse_data_status_
    .private_segment_fixed_size: 0
    .sgpr_count:     52
    .sgpr_spill_count: 0
    .symbol:         _ZN9rocsparseL23check_matrix_csr_deviceILj256ELj64E21rocsparse_complex_numIdEliEEvT3_S3_T2_PKT1_PKS4_PKS3_SB_21rocsparse_index_base_22rocsparse_matrix_type_20rocsparse_fill_mode_23rocsparse_storage_mode_P22rocsparse_data_status_.kd
    .uniform_work_group_size: 1
    .uses_dynamic_stack: false
    .vgpr_count:     20
    .vgpr_spill_count: 0
    .wavefront_size: 64
  - .args:
      - .offset:         0
        .size:           4
        .value_kind:     by_value
      - .offset:         4
        .size:           4
        .value_kind:     by_value
      - .offset:         8
        .size:           8
        .value_kind:     by_value
      - .actual_access:  read_only
        .address_space:  global
        .offset:         16
        .size:           8
        .value_kind:     global_buffer
      - .actual_access:  read_only
        .address_space:  global
        .offset:         24
        .size:           8
        .value_kind:     global_buffer
      - .address_space:  global
        .offset:         32
        .size:           8
        .value_kind:     global_buffer
      - .address_space:  global
        .offset:         40
        .size:           8
        .value_kind:     global_buffer
      - .offset:         48
        .size:           4
        .value_kind:     by_value
      - .offset:         52
        .size:           4
        .value_kind:     by_value
      - .offset:         56
        .size:           4
        .value_kind:     by_value
      - .offset:         60
        .size:           4
        .value_kind:     by_value
      - .address_space:  global
        .offset:         64
        .size:           8
        .value_kind:     global_buffer
    .group_segment_fixed_size: 0
    .kernarg_segment_align: 8
    .kernarg_segment_size: 72
    .language:       OpenCL C
    .language_version:
      - 2
      - 0
    .max_flat_workgroup_size: 256
    .name:           _ZN9rocsparseL23check_matrix_csr_deviceILj256ELj128E21rocsparse_complex_numIdEliEEvT3_S3_T2_PKT1_PKS4_PKS3_SB_21rocsparse_index_base_22rocsparse_matrix_type_20rocsparse_fill_mode_23rocsparse_storage_mode_P22rocsparse_data_status_
    .private_segment_fixed_size: 0
    .sgpr_count:     52
    .sgpr_spill_count: 0
    .symbol:         _ZN9rocsparseL23check_matrix_csr_deviceILj256ELj128E21rocsparse_complex_numIdEliEEvT3_S3_T2_PKT1_PKS4_PKS3_SB_21rocsparse_index_base_22rocsparse_matrix_type_20rocsparse_fill_mode_23rocsparse_storage_mode_P22rocsparse_data_status_.kd
    .uniform_work_group_size: 1
    .uses_dynamic_stack: false
    .vgpr_count:     20
    .vgpr_spill_count: 0
    .wavefront_size: 64
  - .args:
      - .offset:         0
        .size:           4
        .value_kind:     by_value
      - .offset:         4
        .size:           4
        .value_kind:     by_value
      - .offset:         8
        .size:           8
        .value_kind:     by_value
      - .actual_access:  read_only
        .address_space:  global
        .offset:         16
        .size:           8
        .value_kind:     global_buffer
      - .actual_access:  read_only
        .address_space:  global
        .offset:         24
        .size:           8
        .value_kind:     global_buffer
      - .address_space:  global
        .offset:         32
        .size:           8
        .value_kind:     global_buffer
      - .address_space:  global
        .offset:         40
        .size:           8
        .value_kind:     global_buffer
      - .offset:         48
        .size:           4
        .value_kind:     by_value
      - .offset:         52
        .size:           4
        .value_kind:     by_value
      - .offset:         56
        .size:           4
        .value_kind:     by_value
      - .offset:         60
        .size:           4
        .value_kind:     by_value
      - .address_space:  global
        .offset:         64
        .size:           8
        .value_kind:     global_buffer
    .group_segment_fixed_size: 0
    .kernarg_segment_align: 8
    .kernarg_segment_size: 72
    .language:       OpenCL C
    .language_version:
      - 2
      - 0
    .max_flat_workgroup_size: 256
    .name:           _ZN9rocsparseL23check_matrix_csr_deviceILj256ELj256E21rocsparse_complex_numIdEliEEvT3_S3_T2_PKT1_PKS4_PKS3_SB_21rocsparse_index_base_22rocsparse_matrix_type_20rocsparse_fill_mode_23rocsparse_storage_mode_P22rocsparse_data_status_
    .private_segment_fixed_size: 0
    .sgpr_count:     52
    .sgpr_spill_count: 0
    .symbol:         _ZN9rocsparseL23check_matrix_csr_deviceILj256ELj256E21rocsparse_complex_numIdEliEEvT3_S3_T2_PKT1_PKS4_PKS3_SB_21rocsparse_index_base_22rocsparse_matrix_type_20rocsparse_fill_mode_23rocsparse_storage_mode_P22rocsparse_data_status_.kd
    .uniform_work_group_size: 1
    .uses_dynamic_stack: false
    .vgpr_count:     19
    .vgpr_spill_count: 0
    .wavefront_size: 64
  - .args:
      - .offset:         0
        .size:           8
        .value_kind:     by_value
      - .actual_access:  read_only
        .address_space:  global
        .offset:         8
        .size:           8
        .value_kind:     global_buffer
      - .address_space:  global
        .offset:         16
        .size:           8
        .value_kind:     global_buffer
    .group_segment_fixed_size: 0
    .kernarg_segment_align: 8
    .kernarg_segment_size: 24
    .language:       OpenCL C
    .language_version:
      - 2
      - 0
    .max_flat_workgroup_size: 256
    .name:           _ZN9rocsparseL19check_row_ptr_arrayILj256EllEEvT1_PKT0_P22rocsparse_data_status_
    .private_segment_fixed_size: 0
    .sgpr_count:     11
    .sgpr_spill_count: 0
    .symbol:         _ZN9rocsparseL19check_row_ptr_arrayILj256EllEEvT1_PKT0_P22rocsparse_data_status_.kd
    .uniform_work_group_size: 1
    .uses_dynamic_stack: false
    .vgpr_count:     4
    .vgpr_spill_count: 0
    .wavefront_size: 64
  - .args:
      - .offset:         0
        .size:           8
        .value_kind:     by_value
      - .actual_access:  read_only
        .address_space:  global
        .offset:         8
        .size:           8
        .value_kind:     global_buffer
      - .actual_access:  write_only
        .address_space:  global
        .offset:         16
        .size:           8
        .value_kind:     global_buffer
    .group_segment_fixed_size: 0
    .kernarg_segment_align: 8
    .kernarg_segment_size: 24
    .language:       OpenCL C
    .language_version:
      - 2
      - 0
    .max_flat_workgroup_size: 512
    .name:           _ZN9rocsparseL20shift_offsets_kernelILj512EllEEvT1_PKT0_PS2_
    .private_segment_fixed_size: 0
    .sgpr_count:     11
    .sgpr_spill_count: 0
    .symbol:         _ZN9rocsparseL20shift_offsets_kernelILj512EllEEvT1_PKT0_PS2_.kd
    .uniform_work_group_size: 1
    .uses_dynamic_stack: false
    .vgpr_count:     5
    .vgpr_spill_count: 0
    .wavefront_size: 64
  - .args:
      - .offset:         0
        .size:           8
        .value_kind:     by_value
      - .offset:         8
        .size:           8
        .value_kind:     by_value
      - .offset:         16
        .size:           8
        .value_kind:     by_value
      - .actual_access:  read_only
        .address_space:  global
        .offset:         24
        .size:           8
        .value_kind:     global_buffer
      - .actual_access:  read_only
        .address_space:  global
        .offset:         32
        .size:           8
        .value_kind:     global_buffer
      - .address_space:  global
        .offset:         40
        .size:           8
        .value_kind:     global_buffer
      - .address_space:  global
        .offset:         48
        .size:           8
        .value_kind:     global_buffer
      - .offset:         56
        .size:           4
        .value_kind:     by_value
      - .offset:         60
        .size:           4
        .value_kind:     by_value
      - .offset:         64
        .size:           4
        .value_kind:     by_value
      - .offset:         68
        .size:           4
        .value_kind:     by_value
      - .address_space:  global
        .offset:         72
        .size:           8
        .value_kind:     global_buffer
    .group_segment_fixed_size: 0
    .kernarg_segment_align: 8
    .kernarg_segment_size: 80
    .language:       OpenCL C
    .language_version:
      - 2
      - 0
    .max_flat_workgroup_size: 256
    .name:           _ZN9rocsparseL23check_matrix_csr_deviceILj256ELj4EfllEEvT3_S1_T2_PKT1_PKS2_PKS1_S9_21rocsparse_index_base_22rocsparse_matrix_type_20rocsparse_fill_mode_23rocsparse_storage_mode_P22rocsparse_data_status_
    .private_segment_fixed_size: 0
    .sgpr_count:     50
    .sgpr_spill_count: 0
    .symbol:         _ZN9rocsparseL23check_matrix_csr_deviceILj256ELj4EfllEEvT3_S1_T2_PKT1_PKS2_PKS1_S9_21rocsparse_index_base_22rocsparse_matrix_type_20rocsparse_fill_mode_23rocsparse_storage_mode_P22rocsparse_data_status_.kd
    .uniform_work_group_size: 1
    .uses_dynamic_stack: false
    .vgpr_count:     25
    .vgpr_spill_count: 0
    .wavefront_size: 64
  - .args:
      - .offset:         0
        .size:           8
        .value_kind:     by_value
      - .offset:         8
        .size:           8
        .value_kind:     by_value
      - .offset:         16
        .size:           8
        .value_kind:     by_value
      - .actual_access:  read_only
        .address_space:  global
        .offset:         24
        .size:           8
        .value_kind:     global_buffer
      - .actual_access:  read_only
        .address_space:  global
        .offset:         32
        .size:           8
        .value_kind:     global_buffer
      - .address_space:  global
        .offset:         40
        .size:           8
        .value_kind:     global_buffer
      - .address_space:  global
        .offset:         48
        .size:           8
        .value_kind:     global_buffer
      - .offset:         56
        .size:           4
        .value_kind:     by_value
      - .offset:         60
        .size:           4
        .value_kind:     by_value
      - .offset:         64
        .size:           4
        .value_kind:     by_value
      - .offset:         68
        .size:           4
        .value_kind:     by_value
      - .address_space:  global
        .offset:         72
        .size:           8
        .value_kind:     global_buffer
    .group_segment_fixed_size: 0
    .kernarg_segment_align: 8
    .kernarg_segment_size: 80
    .language:       OpenCL C
    .language_version:
      - 2
      - 0
    .max_flat_workgroup_size: 256
    .name:           _ZN9rocsparseL23check_matrix_csr_deviceILj256ELj8EfllEEvT3_S1_T2_PKT1_PKS2_PKS1_S9_21rocsparse_index_base_22rocsparse_matrix_type_20rocsparse_fill_mode_23rocsparse_storage_mode_P22rocsparse_data_status_
    .private_segment_fixed_size: 0
    .sgpr_count:     50
    .sgpr_spill_count: 0
    .symbol:         _ZN9rocsparseL23check_matrix_csr_deviceILj256ELj8EfllEEvT3_S1_T2_PKT1_PKS2_PKS1_S9_21rocsparse_index_base_22rocsparse_matrix_type_20rocsparse_fill_mode_23rocsparse_storage_mode_P22rocsparse_data_status_.kd
    .uniform_work_group_size: 1
    .uses_dynamic_stack: false
    .vgpr_count:     25
    .vgpr_spill_count: 0
    .wavefront_size: 64
  - .args:
      - .offset:         0
        .size:           8
        .value_kind:     by_value
      - .offset:         8
        .size:           8
        .value_kind:     by_value
      - .offset:         16
        .size:           8
        .value_kind:     by_value
      - .actual_access:  read_only
        .address_space:  global
        .offset:         24
        .size:           8
        .value_kind:     global_buffer
      - .actual_access:  read_only
        .address_space:  global
        .offset:         32
        .size:           8
        .value_kind:     global_buffer
      - .address_space:  global
        .offset:         40
        .size:           8
        .value_kind:     global_buffer
      - .address_space:  global
        .offset:         48
        .size:           8
        .value_kind:     global_buffer
      - .offset:         56
        .size:           4
        .value_kind:     by_value
      - .offset:         60
        .size:           4
        .value_kind:     by_value
      - .offset:         64
        .size:           4
        .value_kind:     by_value
      - .offset:         68
        .size:           4
        .value_kind:     by_value
      - .address_space:  global
        .offset:         72
        .size:           8
        .value_kind:     global_buffer
    .group_segment_fixed_size: 0
    .kernarg_segment_align: 8
    .kernarg_segment_size: 80
    .language:       OpenCL C
    .language_version:
      - 2
      - 0
    .max_flat_workgroup_size: 256
    .name:           _ZN9rocsparseL23check_matrix_csr_deviceILj256ELj16EfllEEvT3_S1_T2_PKT1_PKS2_PKS1_S9_21rocsparse_index_base_22rocsparse_matrix_type_20rocsparse_fill_mode_23rocsparse_storage_mode_P22rocsparse_data_status_
    .private_segment_fixed_size: 0
    .sgpr_count:     50
    .sgpr_spill_count: 0
    .symbol:         _ZN9rocsparseL23check_matrix_csr_deviceILj256ELj16EfllEEvT3_S1_T2_PKT1_PKS2_PKS1_S9_21rocsparse_index_base_22rocsparse_matrix_type_20rocsparse_fill_mode_23rocsparse_storage_mode_P22rocsparse_data_status_.kd
    .uniform_work_group_size: 1
    .uses_dynamic_stack: false
    .vgpr_count:     25
    .vgpr_spill_count: 0
    .wavefront_size: 64
  - .args:
      - .offset:         0
        .size:           8
        .value_kind:     by_value
      - .offset:         8
        .size:           8
        .value_kind:     by_value
      - .offset:         16
        .size:           8
        .value_kind:     by_value
      - .actual_access:  read_only
        .address_space:  global
        .offset:         24
        .size:           8
        .value_kind:     global_buffer
      - .actual_access:  read_only
        .address_space:  global
        .offset:         32
        .size:           8
        .value_kind:     global_buffer
      - .address_space:  global
        .offset:         40
        .size:           8
        .value_kind:     global_buffer
      - .address_space:  global
        .offset:         48
        .size:           8
        .value_kind:     global_buffer
      - .offset:         56
        .size:           4
        .value_kind:     by_value
      - .offset:         60
        .size:           4
        .value_kind:     by_value
      - .offset:         64
        .size:           4
        .value_kind:     by_value
      - .offset:         68
        .size:           4
        .value_kind:     by_value
      - .address_space:  global
        .offset:         72
        .size:           8
        .value_kind:     global_buffer
    .group_segment_fixed_size: 0
    .kernarg_segment_align: 8
    .kernarg_segment_size: 80
    .language:       OpenCL C
    .language_version:
      - 2
      - 0
    .max_flat_workgroup_size: 256
    .name:           _ZN9rocsparseL23check_matrix_csr_deviceILj256ELj32EfllEEvT3_S1_T2_PKT1_PKS2_PKS1_S9_21rocsparse_index_base_22rocsparse_matrix_type_20rocsparse_fill_mode_23rocsparse_storage_mode_P22rocsparse_data_status_
    .private_segment_fixed_size: 0
    .sgpr_count:     50
    .sgpr_spill_count: 0
    .symbol:         _ZN9rocsparseL23check_matrix_csr_deviceILj256ELj32EfllEEvT3_S1_T2_PKT1_PKS2_PKS1_S9_21rocsparse_index_base_22rocsparse_matrix_type_20rocsparse_fill_mode_23rocsparse_storage_mode_P22rocsparse_data_status_.kd
    .uniform_work_group_size: 1
    .uses_dynamic_stack: false
    .vgpr_count:     25
    .vgpr_spill_count: 0
    .wavefront_size: 64
  - .args:
      - .offset:         0
        .size:           8
        .value_kind:     by_value
      - .offset:         8
        .size:           8
        .value_kind:     by_value
      - .offset:         16
        .size:           8
        .value_kind:     by_value
      - .actual_access:  read_only
        .address_space:  global
        .offset:         24
        .size:           8
        .value_kind:     global_buffer
      - .actual_access:  read_only
        .address_space:  global
        .offset:         32
        .size:           8
        .value_kind:     global_buffer
      - .address_space:  global
        .offset:         40
        .size:           8
        .value_kind:     global_buffer
      - .address_space:  global
        .offset:         48
        .size:           8
        .value_kind:     global_buffer
      - .offset:         56
        .size:           4
        .value_kind:     by_value
      - .offset:         60
        .size:           4
        .value_kind:     by_value
      - .offset:         64
        .size:           4
        .value_kind:     by_value
      - .offset:         68
        .size:           4
        .value_kind:     by_value
      - .address_space:  global
        .offset:         72
        .size:           8
        .value_kind:     global_buffer
    .group_segment_fixed_size: 0
    .kernarg_segment_align: 8
    .kernarg_segment_size: 80
    .language:       OpenCL C
    .language_version:
      - 2
      - 0
    .max_flat_workgroup_size: 256
    .name:           _ZN9rocsparseL23check_matrix_csr_deviceILj256ELj64EfllEEvT3_S1_T2_PKT1_PKS2_PKS1_S9_21rocsparse_index_base_22rocsparse_matrix_type_20rocsparse_fill_mode_23rocsparse_storage_mode_P22rocsparse_data_status_
    .private_segment_fixed_size: 0
    .sgpr_count:     50
    .sgpr_spill_count: 0
    .symbol:         _ZN9rocsparseL23check_matrix_csr_deviceILj256ELj64EfllEEvT3_S1_T2_PKT1_PKS2_PKS1_S9_21rocsparse_index_base_22rocsparse_matrix_type_20rocsparse_fill_mode_23rocsparse_storage_mode_P22rocsparse_data_status_.kd
    .uniform_work_group_size: 1
    .uses_dynamic_stack: false
    .vgpr_count:     25
    .vgpr_spill_count: 0
    .wavefront_size: 64
  - .args:
      - .offset:         0
        .size:           8
        .value_kind:     by_value
      - .offset:         8
        .size:           8
        .value_kind:     by_value
      - .offset:         16
        .size:           8
        .value_kind:     by_value
      - .actual_access:  read_only
        .address_space:  global
        .offset:         24
        .size:           8
        .value_kind:     global_buffer
      - .actual_access:  read_only
        .address_space:  global
        .offset:         32
        .size:           8
        .value_kind:     global_buffer
      - .address_space:  global
        .offset:         40
        .size:           8
        .value_kind:     global_buffer
      - .address_space:  global
        .offset:         48
        .size:           8
        .value_kind:     global_buffer
      - .offset:         56
        .size:           4
        .value_kind:     by_value
      - .offset:         60
        .size:           4
        .value_kind:     by_value
      - .offset:         64
        .size:           4
        .value_kind:     by_value
      - .offset:         68
        .size:           4
        .value_kind:     by_value
      - .address_space:  global
        .offset:         72
        .size:           8
        .value_kind:     global_buffer
    .group_segment_fixed_size: 0
    .kernarg_segment_align: 8
    .kernarg_segment_size: 80
    .language:       OpenCL C
    .language_version:
      - 2
      - 0
    .max_flat_workgroup_size: 256
    .name:           _ZN9rocsparseL23check_matrix_csr_deviceILj256ELj128EfllEEvT3_S1_T2_PKT1_PKS2_PKS1_S9_21rocsparse_index_base_22rocsparse_matrix_type_20rocsparse_fill_mode_23rocsparse_storage_mode_P22rocsparse_data_status_
    .private_segment_fixed_size: 0
    .sgpr_count:     50
    .sgpr_spill_count: 0
    .symbol:         _ZN9rocsparseL23check_matrix_csr_deviceILj256ELj128EfllEEvT3_S1_T2_PKT1_PKS2_PKS1_S9_21rocsparse_index_base_22rocsparse_matrix_type_20rocsparse_fill_mode_23rocsparse_storage_mode_P22rocsparse_data_status_.kd
    .uniform_work_group_size: 1
    .uses_dynamic_stack: false
    .vgpr_count:     25
    .vgpr_spill_count: 0
    .wavefront_size: 64
  - .args:
      - .offset:         0
        .size:           8
        .value_kind:     by_value
      - .offset:         8
        .size:           8
        .value_kind:     by_value
      - .offset:         16
        .size:           8
        .value_kind:     by_value
      - .actual_access:  read_only
        .address_space:  global
        .offset:         24
        .size:           8
        .value_kind:     global_buffer
      - .actual_access:  read_only
        .address_space:  global
        .offset:         32
        .size:           8
        .value_kind:     global_buffer
      - .address_space:  global
        .offset:         40
        .size:           8
        .value_kind:     global_buffer
      - .address_space:  global
        .offset:         48
        .size:           8
        .value_kind:     global_buffer
      - .offset:         56
        .size:           4
        .value_kind:     by_value
      - .offset:         60
        .size:           4
        .value_kind:     by_value
      - .offset:         64
        .size:           4
        .value_kind:     by_value
      - .offset:         68
        .size:           4
        .value_kind:     by_value
      - .address_space:  global
        .offset:         72
        .size:           8
        .value_kind:     global_buffer
    .group_segment_fixed_size: 0
    .kernarg_segment_align: 8
    .kernarg_segment_size: 80
    .language:       OpenCL C
    .language_version:
      - 2
      - 0
    .max_flat_workgroup_size: 256
    .name:           _ZN9rocsparseL23check_matrix_csr_deviceILj256ELj256EfllEEvT3_S1_T2_PKT1_PKS2_PKS1_S9_21rocsparse_index_base_22rocsparse_matrix_type_20rocsparse_fill_mode_23rocsparse_storage_mode_P22rocsparse_data_status_
    .private_segment_fixed_size: 0
    .sgpr_count:     52
    .sgpr_spill_count: 0
    .symbol:         _ZN9rocsparseL23check_matrix_csr_deviceILj256ELj256EfllEEvT3_S1_T2_PKT1_PKS2_PKS1_S9_21rocsparse_index_base_22rocsparse_matrix_type_20rocsparse_fill_mode_23rocsparse_storage_mode_P22rocsparse_data_status_.kd
    .uniform_work_group_size: 1
    .uses_dynamic_stack: false
    .vgpr_count:     24
    .vgpr_spill_count: 0
    .wavefront_size: 64
  - .args:
      - .offset:         0
        .size:           8
        .value_kind:     by_value
      - .offset:         8
        .size:           8
        .value_kind:     by_value
      - .offset:         16
        .size:           8
        .value_kind:     by_value
      - .actual_access:  read_only
        .address_space:  global
        .offset:         24
        .size:           8
        .value_kind:     global_buffer
      - .actual_access:  read_only
        .address_space:  global
        .offset:         32
        .size:           8
        .value_kind:     global_buffer
      - .address_space:  global
        .offset:         40
        .size:           8
        .value_kind:     global_buffer
      - .address_space:  global
        .offset:         48
        .size:           8
        .value_kind:     global_buffer
      - .offset:         56
        .size:           4
        .value_kind:     by_value
      - .offset:         60
        .size:           4
        .value_kind:     by_value
      - .offset:         64
        .size:           4
        .value_kind:     by_value
      - .offset:         68
        .size:           4
        .value_kind:     by_value
      - .address_space:  global
        .offset:         72
        .size:           8
        .value_kind:     global_buffer
    .group_segment_fixed_size: 0
    .kernarg_segment_align: 8
    .kernarg_segment_size: 80
    .language:       OpenCL C
    .language_version:
      - 2
      - 0
    .max_flat_workgroup_size: 256
    .name:           _ZN9rocsparseL23check_matrix_csr_deviceILj256ELj4EdllEEvT3_S1_T2_PKT1_PKS2_PKS1_S9_21rocsparse_index_base_22rocsparse_matrix_type_20rocsparse_fill_mode_23rocsparse_storage_mode_P22rocsparse_data_status_
    .private_segment_fixed_size: 0
    .sgpr_count:     52
    .sgpr_spill_count: 0
    .symbol:         _ZN9rocsparseL23check_matrix_csr_deviceILj256ELj4EdllEEvT3_S1_T2_PKT1_PKS2_PKS1_S9_21rocsparse_index_base_22rocsparse_matrix_type_20rocsparse_fill_mode_23rocsparse_storage_mode_P22rocsparse_data_status_.kd
    .uniform_work_group_size: 1
    .uses_dynamic_stack: false
    .vgpr_count:     25
    .vgpr_spill_count: 0
    .wavefront_size: 64
  - .args:
      - .offset:         0
        .size:           8
        .value_kind:     by_value
      - .offset:         8
        .size:           8
        .value_kind:     by_value
      - .offset:         16
        .size:           8
        .value_kind:     by_value
      - .actual_access:  read_only
        .address_space:  global
        .offset:         24
        .size:           8
        .value_kind:     global_buffer
      - .actual_access:  read_only
        .address_space:  global
        .offset:         32
        .size:           8
        .value_kind:     global_buffer
      - .address_space:  global
        .offset:         40
        .size:           8
        .value_kind:     global_buffer
      - .address_space:  global
        .offset:         48
        .size:           8
        .value_kind:     global_buffer
      - .offset:         56
        .size:           4
        .value_kind:     by_value
      - .offset:         60
        .size:           4
        .value_kind:     by_value
      - .offset:         64
        .size:           4
        .value_kind:     by_value
      - .offset:         68
        .size:           4
        .value_kind:     by_value
      - .address_space:  global
        .offset:         72
        .size:           8
        .value_kind:     global_buffer
    .group_segment_fixed_size: 0
    .kernarg_segment_align: 8
    .kernarg_segment_size: 80
    .language:       OpenCL C
    .language_version:
      - 2
      - 0
    .max_flat_workgroup_size: 256
    .name:           _ZN9rocsparseL23check_matrix_csr_deviceILj256ELj8EdllEEvT3_S1_T2_PKT1_PKS2_PKS1_S9_21rocsparse_index_base_22rocsparse_matrix_type_20rocsparse_fill_mode_23rocsparse_storage_mode_P22rocsparse_data_status_
    .private_segment_fixed_size: 0
    .sgpr_count:     52
    .sgpr_spill_count: 0
    .symbol:         _ZN9rocsparseL23check_matrix_csr_deviceILj256ELj8EdllEEvT3_S1_T2_PKT1_PKS2_PKS1_S9_21rocsparse_index_base_22rocsparse_matrix_type_20rocsparse_fill_mode_23rocsparse_storage_mode_P22rocsparse_data_status_.kd
    .uniform_work_group_size: 1
    .uses_dynamic_stack: false
    .vgpr_count:     25
    .vgpr_spill_count: 0
    .wavefront_size: 64
  - .args:
      - .offset:         0
        .size:           8
        .value_kind:     by_value
      - .offset:         8
        .size:           8
        .value_kind:     by_value
      - .offset:         16
        .size:           8
        .value_kind:     by_value
      - .actual_access:  read_only
        .address_space:  global
        .offset:         24
        .size:           8
        .value_kind:     global_buffer
      - .actual_access:  read_only
        .address_space:  global
        .offset:         32
        .size:           8
        .value_kind:     global_buffer
      - .address_space:  global
        .offset:         40
        .size:           8
        .value_kind:     global_buffer
      - .address_space:  global
        .offset:         48
        .size:           8
        .value_kind:     global_buffer
      - .offset:         56
        .size:           4
        .value_kind:     by_value
      - .offset:         60
        .size:           4
        .value_kind:     by_value
      - .offset:         64
        .size:           4
        .value_kind:     by_value
      - .offset:         68
        .size:           4
        .value_kind:     by_value
      - .address_space:  global
        .offset:         72
        .size:           8
        .value_kind:     global_buffer
    .group_segment_fixed_size: 0
    .kernarg_segment_align: 8
    .kernarg_segment_size: 80
    .language:       OpenCL C
    .language_version:
      - 2
      - 0
    .max_flat_workgroup_size: 256
    .name:           _ZN9rocsparseL23check_matrix_csr_deviceILj256ELj16EdllEEvT3_S1_T2_PKT1_PKS2_PKS1_S9_21rocsparse_index_base_22rocsparse_matrix_type_20rocsparse_fill_mode_23rocsparse_storage_mode_P22rocsparse_data_status_
    .private_segment_fixed_size: 0
    .sgpr_count:     52
    .sgpr_spill_count: 0
    .symbol:         _ZN9rocsparseL23check_matrix_csr_deviceILj256ELj16EdllEEvT3_S1_T2_PKT1_PKS2_PKS1_S9_21rocsparse_index_base_22rocsparse_matrix_type_20rocsparse_fill_mode_23rocsparse_storage_mode_P22rocsparse_data_status_.kd
    .uniform_work_group_size: 1
    .uses_dynamic_stack: false
    .vgpr_count:     25
    .vgpr_spill_count: 0
    .wavefront_size: 64
  - .args:
      - .offset:         0
        .size:           8
        .value_kind:     by_value
      - .offset:         8
        .size:           8
        .value_kind:     by_value
      - .offset:         16
        .size:           8
        .value_kind:     by_value
      - .actual_access:  read_only
        .address_space:  global
        .offset:         24
        .size:           8
        .value_kind:     global_buffer
      - .actual_access:  read_only
        .address_space:  global
        .offset:         32
        .size:           8
        .value_kind:     global_buffer
      - .address_space:  global
        .offset:         40
        .size:           8
        .value_kind:     global_buffer
      - .address_space:  global
        .offset:         48
        .size:           8
        .value_kind:     global_buffer
      - .offset:         56
        .size:           4
        .value_kind:     by_value
      - .offset:         60
        .size:           4
        .value_kind:     by_value
      - .offset:         64
        .size:           4
        .value_kind:     by_value
      - .offset:         68
        .size:           4
        .value_kind:     by_value
      - .address_space:  global
        .offset:         72
        .size:           8
        .value_kind:     global_buffer
    .group_segment_fixed_size: 0
    .kernarg_segment_align: 8
    .kernarg_segment_size: 80
    .language:       OpenCL C
    .language_version:
      - 2
      - 0
    .max_flat_workgroup_size: 256
    .name:           _ZN9rocsparseL23check_matrix_csr_deviceILj256ELj32EdllEEvT3_S1_T2_PKT1_PKS2_PKS1_S9_21rocsparse_index_base_22rocsparse_matrix_type_20rocsparse_fill_mode_23rocsparse_storage_mode_P22rocsparse_data_status_
    .private_segment_fixed_size: 0
    .sgpr_count:     52
    .sgpr_spill_count: 0
    .symbol:         _ZN9rocsparseL23check_matrix_csr_deviceILj256ELj32EdllEEvT3_S1_T2_PKT1_PKS2_PKS1_S9_21rocsparse_index_base_22rocsparse_matrix_type_20rocsparse_fill_mode_23rocsparse_storage_mode_P22rocsparse_data_status_.kd
    .uniform_work_group_size: 1
    .uses_dynamic_stack: false
    .vgpr_count:     25
    .vgpr_spill_count: 0
    .wavefront_size: 64
  - .args:
      - .offset:         0
        .size:           8
        .value_kind:     by_value
      - .offset:         8
        .size:           8
        .value_kind:     by_value
      - .offset:         16
        .size:           8
        .value_kind:     by_value
      - .actual_access:  read_only
        .address_space:  global
        .offset:         24
        .size:           8
        .value_kind:     global_buffer
      - .actual_access:  read_only
        .address_space:  global
        .offset:         32
        .size:           8
        .value_kind:     global_buffer
      - .address_space:  global
        .offset:         40
        .size:           8
        .value_kind:     global_buffer
      - .address_space:  global
        .offset:         48
        .size:           8
        .value_kind:     global_buffer
      - .offset:         56
        .size:           4
        .value_kind:     by_value
      - .offset:         60
        .size:           4
        .value_kind:     by_value
      - .offset:         64
        .size:           4
        .value_kind:     by_value
      - .offset:         68
        .size:           4
        .value_kind:     by_value
      - .address_space:  global
        .offset:         72
        .size:           8
        .value_kind:     global_buffer
    .group_segment_fixed_size: 0
    .kernarg_segment_align: 8
    .kernarg_segment_size: 80
    .language:       OpenCL C
    .language_version:
      - 2
      - 0
    .max_flat_workgroup_size: 256
    .name:           _ZN9rocsparseL23check_matrix_csr_deviceILj256ELj64EdllEEvT3_S1_T2_PKT1_PKS2_PKS1_S9_21rocsparse_index_base_22rocsparse_matrix_type_20rocsparse_fill_mode_23rocsparse_storage_mode_P22rocsparse_data_status_
    .private_segment_fixed_size: 0
    .sgpr_count:     52
    .sgpr_spill_count: 0
    .symbol:         _ZN9rocsparseL23check_matrix_csr_deviceILj256ELj64EdllEEvT3_S1_T2_PKT1_PKS2_PKS1_S9_21rocsparse_index_base_22rocsparse_matrix_type_20rocsparse_fill_mode_23rocsparse_storage_mode_P22rocsparse_data_status_.kd
    .uniform_work_group_size: 1
    .uses_dynamic_stack: false
    .vgpr_count:     25
    .vgpr_spill_count: 0
    .wavefront_size: 64
  - .args:
      - .offset:         0
        .size:           8
        .value_kind:     by_value
      - .offset:         8
        .size:           8
        .value_kind:     by_value
      - .offset:         16
        .size:           8
        .value_kind:     by_value
      - .actual_access:  read_only
        .address_space:  global
        .offset:         24
        .size:           8
        .value_kind:     global_buffer
      - .actual_access:  read_only
        .address_space:  global
        .offset:         32
        .size:           8
        .value_kind:     global_buffer
      - .address_space:  global
        .offset:         40
        .size:           8
        .value_kind:     global_buffer
      - .address_space:  global
        .offset:         48
        .size:           8
        .value_kind:     global_buffer
      - .offset:         56
        .size:           4
        .value_kind:     by_value
      - .offset:         60
        .size:           4
        .value_kind:     by_value
      - .offset:         64
        .size:           4
        .value_kind:     by_value
      - .offset:         68
        .size:           4
        .value_kind:     by_value
      - .address_space:  global
        .offset:         72
        .size:           8
        .value_kind:     global_buffer
    .group_segment_fixed_size: 0
    .kernarg_segment_align: 8
    .kernarg_segment_size: 80
    .language:       OpenCL C
    .language_version:
      - 2
      - 0
    .max_flat_workgroup_size: 256
    .name:           _ZN9rocsparseL23check_matrix_csr_deviceILj256ELj128EdllEEvT3_S1_T2_PKT1_PKS2_PKS1_S9_21rocsparse_index_base_22rocsparse_matrix_type_20rocsparse_fill_mode_23rocsparse_storage_mode_P22rocsparse_data_status_
    .private_segment_fixed_size: 0
    .sgpr_count:     52
    .sgpr_spill_count: 0
    .symbol:         _ZN9rocsparseL23check_matrix_csr_deviceILj256ELj128EdllEEvT3_S1_T2_PKT1_PKS2_PKS1_S9_21rocsparse_index_base_22rocsparse_matrix_type_20rocsparse_fill_mode_23rocsparse_storage_mode_P22rocsparse_data_status_.kd
    .uniform_work_group_size: 1
    .uses_dynamic_stack: false
    .vgpr_count:     25
    .vgpr_spill_count: 0
    .wavefront_size: 64
  - .args:
      - .offset:         0
        .size:           8
        .value_kind:     by_value
      - .offset:         8
        .size:           8
        .value_kind:     by_value
      - .offset:         16
        .size:           8
        .value_kind:     by_value
      - .actual_access:  read_only
        .address_space:  global
        .offset:         24
        .size:           8
        .value_kind:     global_buffer
      - .actual_access:  read_only
        .address_space:  global
        .offset:         32
        .size:           8
        .value_kind:     global_buffer
      - .address_space:  global
        .offset:         40
        .size:           8
        .value_kind:     global_buffer
      - .address_space:  global
        .offset:         48
        .size:           8
        .value_kind:     global_buffer
      - .offset:         56
        .size:           4
        .value_kind:     by_value
      - .offset:         60
        .size:           4
        .value_kind:     by_value
      - .offset:         64
        .size:           4
        .value_kind:     by_value
      - .offset:         68
        .size:           4
        .value_kind:     by_value
      - .address_space:  global
        .offset:         72
        .size:           8
        .value_kind:     global_buffer
    .group_segment_fixed_size: 0
    .kernarg_segment_align: 8
    .kernarg_segment_size: 80
    .language:       OpenCL C
    .language_version:
      - 2
      - 0
    .max_flat_workgroup_size: 256
    .name:           _ZN9rocsparseL23check_matrix_csr_deviceILj256ELj256EdllEEvT3_S1_T2_PKT1_PKS2_PKS1_S9_21rocsparse_index_base_22rocsparse_matrix_type_20rocsparse_fill_mode_23rocsparse_storage_mode_P22rocsparse_data_status_
    .private_segment_fixed_size: 0
    .sgpr_count:     54
    .sgpr_spill_count: 0
    .symbol:         _ZN9rocsparseL23check_matrix_csr_deviceILj256ELj256EdllEEvT3_S1_T2_PKT1_PKS2_PKS1_S9_21rocsparse_index_base_22rocsparse_matrix_type_20rocsparse_fill_mode_23rocsparse_storage_mode_P22rocsparse_data_status_.kd
    .uniform_work_group_size: 1
    .uses_dynamic_stack: false
    .vgpr_count:     24
    .vgpr_spill_count: 0
    .wavefront_size: 64
  - .args:
      - .offset:         0
        .size:           8
        .value_kind:     by_value
      - .offset:         8
        .size:           8
        .value_kind:     by_value
      - .offset:         16
        .size:           8
        .value_kind:     by_value
      - .actual_access:  read_only
        .address_space:  global
        .offset:         24
        .size:           8
        .value_kind:     global_buffer
      - .actual_access:  read_only
        .address_space:  global
        .offset:         32
        .size:           8
        .value_kind:     global_buffer
      - .address_space:  global
        .offset:         40
        .size:           8
        .value_kind:     global_buffer
      - .address_space:  global
        .offset:         48
        .size:           8
        .value_kind:     global_buffer
      - .offset:         56
        .size:           4
        .value_kind:     by_value
      - .offset:         60
        .size:           4
        .value_kind:     by_value
      - .offset:         64
        .size:           4
        .value_kind:     by_value
      - .offset:         68
        .size:           4
        .value_kind:     by_value
      - .address_space:  global
        .offset:         72
        .size:           8
        .value_kind:     global_buffer
    .group_segment_fixed_size: 0
    .kernarg_segment_align: 8
    .kernarg_segment_size: 80
    .language:       OpenCL C
    .language_version:
      - 2
      - 0
    .max_flat_workgroup_size: 256
    .name:           _ZN9rocsparseL23check_matrix_csr_deviceILj256ELj4E21rocsparse_complex_numIfEllEEvT3_S3_T2_PKT1_PKS4_PKS3_SB_21rocsparse_index_base_22rocsparse_matrix_type_20rocsparse_fill_mode_23rocsparse_storage_mode_P22rocsparse_data_status_
    .private_segment_fixed_size: 0
    .sgpr_count:     50
    .sgpr_spill_count: 0
    .symbol:         _ZN9rocsparseL23check_matrix_csr_deviceILj256ELj4E21rocsparse_complex_numIfEllEEvT3_S3_T2_PKT1_PKS4_PKS3_SB_21rocsparse_index_base_22rocsparse_matrix_type_20rocsparse_fill_mode_23rocsparse_storage_mode_P22rocsparse_data_status_.kd
    .uniform_work_group_size: 1
    .uses_dynamic_stack: false
    .vgpr_count:     25
    .vgpr_spill_count: 0
    .wavefront_size: 64
  - .args:
      - .offset:         0
        .size:           8
        .value_kind:     by_value
      - .offset:         8
        .size:           8
        .value_kind:     by_value
      - .offset:         16
        .size:           8
        .value_kind:     by_value
      - .actual_access:  read_only
        .address_space:  global
        .offset:         24
        .size:           8
        .value_kind:     global_buffer
      - .actual_access:  read_only
        .address_space:  global
        .offset:         32
        .size:           8
        .value_kind:     global_buffer
      - .address_space:  global
        .offset:         40
        .size:           8
        .value_kind:     global_buffer
      - .address_space:  global
        .offset:         48
        .size:           8
        .value_kind:     global_buffer
      - .offset:         56
        .size:           4
        .value_kind:     by_value
      - .offset:         60
        .size:           4
        .value_kind:     by_value
      - .offset:         64
        .size:           4
        .value_kind:     by_value
      - .offset:         68
        .size:           4
        .value_kind:     by_value
      - .address_space:  global
        .offset:         72
        .size:           8
        .value_kind:     global_buffer
    .group_segment_fixed_size: 0
    .kernarg_segment_align: 8
    .kernarg_segment_size: 80
    .language:       OpenCL C
    .language_version:
      - 2
      - 0
    .max_flat_workgroup_size: 256
    .name:           _ZN9rocsparseL23check_matrix_csr_deviceILj256ELj8E21rocsparse_complex_numIfEllEEvT3_S3_T2_PKT1_PKS4_PKS3_SB_21rocsparse_index_base_22rocsparse_matrix_type_20rocsparse_fill_mode_23rocsparse_storage_mode_P22rocsparse_data_status_
    .private_segment_fixed_size: 0
    .sgpr_count:     50
    .sgpr_spill_count: 0
    .symbol:         _ZN9rocsparseL23check_matrix_csr_deviceILj256ELj8E21rocsparse_complex_numIfEllEEvT3_S3_T2_PKT1_PKS4_PKS3_SB_21rocsparse_index_base_22rocsparse_matrix_type_20rocsparse_fill_mode_23rocsparse_storage_mode_P22rocsparse_data_status_.kd
    .uniform_work_group_size: 1
    .uses_dynamic_stack: false
    .vgpr_count:     25
    .vgpr_spill_count: 0
    .wavefront_size: 64
  - .args:
      - .offset:         0
        .size:           8
        .value_kind:     by_value
      - .offset:         8
        .size:           8
        .value_kind:     by_value
      - .offset:         16
        .size:           8
        .value_kind:     by_value
      - .actual_access:  read_only
        .address_space:  global
        .offset:         24
        .size:           8
        .value_kind:     global_buffer
      - .actual_access:  read_only
        .address_space:  global
        .offset:         32
        .size:           8
        .value_kind:     global_buffer
      - .address_space:  global
        .offset:         40
        .size:           8
        .value_kind:     global_buffer
      - .address_space:  global
        .offset:         48
        .size:           8
        .value_kind:     global_buffer
      - .offset:         56
        .size:           4
        .value_kind:     by_value
      - .offset:         60
        .size:           4
        .value_kind:     by_value
      - .offset:         64
        .size:           4
        .value_kind:     by_value
      - .offset:         68
        .size:           4
        .value_kind:     by_value
      - .address_space:  global
        .offset:         72
        .size:           8
        .value_kind:     global_buffer
    .group_segment_fixed_size: 0
    .kernarg_segment_align: 8
    .kernarg_segment_size: 80
    .language:       OpenCL C
    .language_version:
      - 2
      - 0
    .max_flat_workgroup_size: 256
    .name:           _ZN9rocsparseL23check_matrix_csr_deviceILj256ELj16E21rocsparse_complex_numIfEllEEvT3_S3_T2_PKT1_PKS4_PKS3_SB_21rocsparse_index_base_22rocsparse_matrix_type_20rocsparse_fill_mode_23rocsparse_storage_mode_P22rocsparse_data_status_
    .private_segment_fixed_size: 0
    .sgpr_count:     50
    .sgpr_spill_count: 0
    .symbol:         _ZN9rocsparseL23check_matrix_csr_deviceILj256ELj16E21rocsparse_complex_numIfEllEEvT3_S3_T2_PKT1_PKS4_PKS3_SB_21rocsparse_index_base_22rocsparse_matrix_type_20rocsparse_fill_mode_23rocsparse_storage_mode_P22rocsparse_data_status_.kd
    .uniform_work_group_size: 1
    .uses_dynamic_stack: false
    .vgpr_count:     25
    .vgpr_spill_count: 0
    .wavefront_size: 64
  - .args:
      - .offset:         0
        .size:           8
        .value_kind:     by_value
      - .offset:         8
        .size:           8
        .value_kind:     by_value
      - .offset:         16
        .size:           8
        .value_kind:     by_value
      - .actual_access:  read_only
        .address_space:  global
        .offset:         24
        .size:           8
        .value_kind:     global_buffer
      - .actual_access:  read_only
        .address_space:  global
        .offset:         32
        .size:           8
        .value_kind:     global_buffer
      - .address_space:  global
        .offset:         40
        .size:           8
        .value_kind:     global_buffer
      - .address_space:  global
        .offset:         48
        .size:           8
        .value_kind:     global_buffer
      - .offset:         56
        .size:           4
        .value_kind:     by_value
      - .offset:         60
        .size:           4
        .value_kind:     by_value
      - .offset:         64
        .size:           4
        .value_kind:     by_value
      - .offset:         68
        .size:           4
        .value_kind:     by_value
      - .address_space:  global
        .offset:         72
        .size:           8
        .value_kind:     global_buffer
    .group_segment_fixed_size: 0
    .kernarg_segment_align: 8
    .kernarg_segment_size: 80
    .language:       OpenCL C
    .language_version:
      - 2
      - 0
    .max_flat_workgroup_size: 256
    .name:           _ZN9rocsparseL23check_matrix_csr_deviceILj256ELj32E21rocsparse_complex_numIfEllEEvT3_S3_T2_PKT1_PKS4_PKS3_SB_21rocsparse_index_base_22rocsparse_matrix_type_20rocsparse_fill_mode_23rocsparse_storage_mode_P22rocsparse_data_status_
    .private_segment_fixed_size: 0
    .sgpr_count:     50
    .sgpr_spill_count: 0
    .symbol:         _ZN9rocsparseL23check_matrix_csr_deviceILj256ELj32E21rocsparse_complex_numIfEllEEvT3_S3_T2_PKT1_PKS4_PKS3_SB_21rocsparse_index_base_22rocsparse_matrix_type_20rocsparse_fill_mode_23rocsparse_storage_mode_P22rocsparse_data_status_.kd
    .uniform_work_group_size: 1
    .uses_dynamic_stack: false
    .vgpr_count:     25
    .vgpr_spill_count: 0
    .wavefront_size: 64
  - .args:
      - .offset:         0
        .size:           8
        .value_kind:     by_value
      - .offset:         8
        .size:           8
        .value_kind:     by_value
      - .offset:         16
        .size:           8
        .value_kind:     by_value
      - .actual_access:  read_only
        .address_space:  global
        .offset:         24
        .size:           8
        .value_kind:     global_buffer
      - .actual_access:  read_only
        .address_space:  global
        .offset:         32
        .size:           8
        .value_kind:     global_buffer
      - .address_space:  global
        .offset:         40
        .size:           8
        .value_kind:     global_buffer
      - .address_space:  global
        .offset:         48
        .size:           8
        .value_kind:     global_buffer
      - .offset:         56
        .size:           4
        .value_kind:     by_value
      - .offset:         60
        .size:           4
        .value_kind:     by_value
      - .offset:         64
        .size:           4
        .value_kind:     by_value
      - .offset:         68
        .size:           4
        .value_kind:     by_value
      - .address_space:  global
        .offset:         72
        .size:           8
        .value_kind:     global_buffer
    .group_segment_fixed_size: 0
    .kernarg_segment_align: 8
    .kernarg_segment_size: 80
    .language:       OpenCL C
    .language_version:
      - 2
      - 0
    .max_flat_workgroup_size: 256
    .name:           _ZN9rocsparseL23check_matrix_csr_deviceILj256ELj64E21rocsparse_complex_numIfEllEEvT3_S3_T2_PKT1_PKS4_PKS3_SB_21rocsparse_index_base_22rocsparse_matrix_type_20rocsparse_fill_mode_23rocsparse_storage_mode_P22rocsparse_data_status_
    .private_segment_fixed_size: 0
    .sgpr_count:     50
    .sgpr_spill_count: 0
    .symbol:         _ZN9rocsparseL23check_matrix_csr_deviceILj256ELj64E21rocsparse_complex_numIfEllEEvT3_S3_T2_PKT1_PKS4_PKS3_SB_21rocsparse_index_base_22rocsparse_matrix_type_20rocsparse_fill_mode_23rocsparse_storage_mode_P22rocsparse_data_status_.kd
    .uniform_work_group_size: 1
    .uses_dynamic_stack: false
    .vgpr_count:     25
    .vgpr_spill_count: 0
    .wavefront_size: 64
  - .args:
      - .offset:         0
        .size:           8
        .value_kind:     by_value
      - .offset:         8
        .size:           8
        .value_kind:     by_value
      - .offset:         16
        .size:           8
        .value_kind:     by_value
      - .actual_access:  read_only
        .address_space:  global
        .offset:         24
        .size:           8
        .value_kind:     global_buffer
      - .actual_access:  read_only
        .address_space:  global
        .offset:         32
        .size:           8
        .value_kind:     global_buffer
      - .address_space:  global
        .offset:         40
        .size:           8
        .value_kind:     global_buffer
      - .address_space:  global
        .offset:         48
        .size:           8
        .value_kind:     global_buffer
      - .offset:         56
        .size:           4
        .value_kind:     by_value
      - .offset:         60
        .size:           4
        .value_kind:     by_value
      - .offset:         64
        .size:           4
        .value_kind:     by_value
      - .offset:         68
        .size:           4
        .value_kind:     by_value
      - .address_space:  global
        .offset:         72
        .size:           8
        .value_kind:     global_buffer
    .group_segment_fixed_size: 0
    .kernarg_segment_align: 8
    .kernarg_segment_size: 80
    .language:       OpenCL C
    .language_version:
      - 2
      - 0
    .max_flat_workgroup_size: 256
    .name:           _ZN9rocsparseL23check_matrix_csr_deviceILj256ELj128E21rocsparse_complex_numIfEllEEvT3_S3_T2_PKT1_PKS4_PKS3_SB_21rocsparse_index_base_22rocsparse_matrix_type_20rocsparse_fill_mode_23rocsparse_storage_mode_P22rocsparse_data_status_
    .private_segment_fixed_size: 0
    .sgpr_count:     50
    .sgpr_spill_count: 0
    .symbol:         _ZN9rocsparseL23check_matrix_csr_deviceILj256ELj128E21rocsparse_complex_numIfEllEEvT3_S3_T2_PKT1_PKS4_PKS3_SB_21rocsparse_index_base_22rocsparse_matrix_type_20rocsparse_fill_mode_23rocsparse_storage_mode_P22rocsparse_data_status_.kd
    .uniform_work_group_size: 1
    .uses_dynamic_stack: false
    .vgpr_count:     25
    .vgpr_spill_count: 0
    .wavefront_size: 64
  - .args:
      - .offset:         0
        .size:           8
        .value_kind:     by_value
      - .offset:         8
        .size:           8
        .value_kind:     by_value
      - .offset:         16
        .size:           8
        .value_kind:     by_value
      - .actual_access:  read_only
        .address_space:  global
        .offset:         24
        .size:           8
        .value_kind:     global_buffer
      - .actual_access:  read_only
        .address_space:  global
        .offset:         32
        .size:           8
        .value_kind:     global_buffer
      - .address_space:  global
        .offset:         40
        .size:           8
        .value_kind:     global_buffer
      - .address_space:  global
        .offset:         48
        .size:           8
        .value_kind:     global_buffer
      - .offset:         56
        .size:           4
        .value_kind:     by_value
      - .offset:         60
        .size:           4
        .value_kind:     by_value
      - .offset:         64
        .size:           4
        .value_kind:     by_value
      - .offset:         68
        .size:           4
        .value_kind:     by_value
      - .address_space:  global
        .offset:         72
        .size:           8
        .value_kind:     global_buffer
    .group_segment_fixed_size: 0
    .kernarg_segment_align: 8
    .kernarg_segment_size: 80
    .language:       OpenCL C
    .language_version:
      - 2
      - 0
    .max_flat_workgroup_size: 256
    .name:           _ZN9rocsparseL23check_matrix_csr_deviceILj256ELj256E21rocsparse_complex_numIfEllEEvT3_S3_T2_PKT1_PKS4_PKS3_SB_21rocsparse_index_base_22rocsparse_matrix_type_20rocsparse_fill_mode_23rocsparse_storage_mode_P22rocsparse_data_status_
    .private_segment_fixed_size: 0
    .sgpr_count:     52
    .sgpr_spill_count: 0
    .symbol:         _ZN9rocsparseL23check_matrix_csr_deviceILj256ELj256E21rocsparse_complex_numIfEllEEvT3_S3_T2_PKT1_PKS4_PKS3_SB_21rocsparse_index_base_22rocsparse_matrix_type_20rocsparse_fill_mode_23rocsparse_storage_mode_P22rocsparse_data_status_.kd
    .uniform_work_group_size: 1
    .uses_dynamic_stack: false
    .vgpr_count:     24
    .vgpr_spill_count: 0
    .wavefront_size: 64
  - .args:
      - .offset:         0
        .size:           8
        .value_kind:     by_value
      - .offset:         8
        .size:           8
        .value_kind:     by_value
      - .offset:         16
        .size:           8
        .value_kind:     by_value
      - .actual_access:  read_only
        .address_space:  global
        .offset:         24
        .size:           8
        .value_kind:     global_buffer
      - .actual_access:  read_only
        .address_space:  global
        .offset:         32
        .size:           8
        .value_kind:     global_buffer
      - .address_space:  global
        .offset:         40
        .size:           8
        .value_kind:     global_buffer
      - .address_space:  global
        .offset:         48
        .size:           8
        .value_kind:     global_buffer
      - .offset:         56
        .size:           4
        .value_kind:     by_value
      - .offset:         60
        .size:           4
        .value_kind:     by_value
      - .offset:         64
        .size:           4
        .value_kind:     by_value
      - .offset:         68
        .size:           4
        .value_kind:     by_value
      - .address_space:  global
        .offset:         72
        .size:           8
        .value_kind:     global_buffer
    .group_segment_fixed_size: 0
    .kernarg_segment_align: 8
    .kernarg_segment_size: 80
    .language:       OpenCL C
    .language_version:
      - 2
      - 0
    .max_flat_workgroup_size: 256
    .name:           _ZN9rocsparseL23check_matrix_csr_deviceILj256ELj4E21rocsparse_complex_numIdEllEEvT3_S3_T2_PKT1_PKS4_PKS3_SB_21rocsparse_index_base_22rocsparse_matrix_type_20rocsparse_fill_mode_23rocsparse_storage_mode_P22rocsparse_data_status_
    .private_segment_fixed_size: 0
    .sgpr_count:     52
    .sgpr_spill_count: 0
    .symbol:         _ZN9rocsparseL23check_matrix_csr_deviceILj256ELj4E21rocsparse_complex_numIdEllEEvT3_S3_T2_PKT1_PKS4_PKS3_SB_21rocsparse_index_base_22rocsparse_matrix_type_20rocsparse_fill_mode_23rocsparse_storage_mode_P22rocsparse_data_status_.kd
    .uniform_work_group_size: 1
    .uses_dynamic_stack: false
    .vgpr_count:     24
    .vgpr_spill_count: 0
    .wavefront_size: 64
  - .args:
      - .offset:         0
        .size:           8
        .value_kind:     by_value
      - .offset:         8
        .size:           8
        .value_kind:     by_value
      - .offset:         16
        .size:           8
        .value_kind:     by_value
      - .actual_access:  read_only
        .address_space:  global
        .offset:         24
        .size:           8
        .value_kind:     global_buffer
      - .actual_access:  read_only
        .address_space:  global
        .offset:         32
        .size:           8
        .value_kind:     global_buffer
      - .address_space:  global
        .offset:         40
        .size:           8
        .value_kind:     global_buffer
      - .address_space:  global
        .offset:         48
        .size:           8
        .value_kind:     global_buffer
      - .offset:         56
        .size:           4
        .value_kind:     by_value
      - .offset:         60
        .size:           4
        .value_kind:     by_value
      - .offset:         64
        .size:           4
        .value_kind:     by_value
      - .offset:         68
        .size:           4
        .value_kind:     by_value
      - .address_space:  global
        .offset:         72
        .size:           8
        .value_kind:     global_buffer
    .group_segment_fixed_size: 0
    .kernarg_segment_align: 8
    .kernarg_segment_size: 80
    .language:       OpenCL C
    .language_version:
      - 2
      - 0
    .max_flat_workgroup_size: 256
    .name:           _ZN9rocsparseL23check_matrix_csr_deviceILj256ELj8E21rocsparse_complex_numIdEllEEvT3_S3_T2_PKT1_PKS4_PKS3_SB_21rocsparse_index_base_22rocsparse_matrix_type_20rocsparse_fill_mode_23rocsparse_storage_mode_P22rocsparse_data_status_
    .private_segment_fixed_size: 0
    .sgpr_count:     52
    .sgpr_spill_count: 0
    .symbol:         _ZN9rocsparseL23check_matrix_csr_deviceILj256ELj8E21rocsparse_complex_numIdEllEEvT3_S3_T2_PKT1_PKS4_PKS3_SB_21rocsparse_index_base_22rocsparse_matrix_type_20rocsparse_fill_mode_23rocsparse_storage_mode_P22rocsparse_data_status_.kd
    .uniform_work_group_size: 1
    .uses_dynamic_stack: false
    .vgpr_count:     24
    .vgpr_spill_count: 0
    .wavefront_size: 64
  - .args:
      - .offset:         0
        .size:           8
        .value_kind:     by_value
      - .offset:         8
        .size:           8
        .value_kind:     by_value
      - .offset:         16
        .size:           8
        .value_kind:     by_value
      - .actual_access:  read_only
        .address_space:  global
        .offset:         24
        .size:           8
        .value_kind:     global_buffer
      - .actual_access:  read_only
        .address_space:  global
        .offset:         32
        .size:           8
        .value_kind:     global_buffer
      - .address_space:  global
        .offset:         40
        .size:           8
        .value_kind:     global_buffer
      - .address_space:  global
        .offset:         48
        .size:           8
        .value_kind:     global_buffer
      - .offset:         56
        .size:           4
        .value_kind:     by_value
      - .offset:         60
        .size:           4
        .value_kind:     by_value
      - .offset:         64
        .size:           4
        .value_kind:     by_value
      - .offset:         68
        .size:           4
        .value_kind:     by_value
      - .address_space:  global
        .offset:         72
        .size:           8
        .value_kind:     global_buffer
    .group_segment_fixed_size: 0
    .kernarg_segment_align: 8
    .kernarg_segment_size: 80
    .language:       OpenCL C
    .language_version:
      - 2
      - 0
    .max_flat_workgroup_size: 256
    .name:           _ZN9rocsparseL23check_matrix_csr_deviceILj256ELj16E21rocsparse_complex_numIdEllEEvT3_S3_T2_PKT1_PKS4_PKS3_SB_21rocsparse_index_base_22rocsparse_matrix_type_20rocsparse_fill_mode_23rocsparse_storage_mode_P22rocsparse_data_status_
    .private_segment_fixed_size: 0
    .sgpr_count:     52
    .sgpr_spill_count: 0
    .symbol:         _ZN9rocsparseL23check_matrix_csr_deviceILj256ELj16E21rocsparse_complex_numIdEllEEvT3_S3_T2_PKT1_PKS4_PKS3_SB_21rocsparse_index_base_22rocsparse_matrix_type_20rocsparse_fill_mode_23rocsparse_storage_mode_P22rocsparse_data_status_.kd
    .uniform_work_group_size: 1
    .uses_dynamic_stack: false
    .vgpr_count:     24
    .vgpr_spill_count: 0
    .wavefront_size: 64
  - .args:
      - .offset:         0
        .size:           8
        .value_kind:     by_value
      - .offset:         8
        .size:           8
        .value_kind:     by_value
      - .offset:         16
        .size:           8
        .value_kind:     by_value
      - .actual_access:  read_only
        .address_space:  global
        .offset:         24
        .size:           8
        .value_kind:     global_buffer
      - .actual_access:  read_only
        .address_space:  global
        .offset:         32
        .size:           8
        .value_kind:     global_buffer
      - .address_space:  global
        .offset:         40
        .size:           8
        .value_kind:     global_buffer
      - .address_space:  global
        .offset:         48
        .size:           8
        .value_kind:     global_buffer
      - .offset:         56
        .size:           4
        .value_kind:     by_value
      - .offset:         60
        .size:           4
        .value_kind:     by_value
      - .offset:         64
        .size:           4
        .value_kind:     by_value
      - .offset:         68
        .size:           4
        .value_kind:     by_value
      - .address_space:  global
        .offset:         72
        .size:           8
        .value_kind:     global_buffer
    .group_segment_fixed_size: 0
    .kernarg_segment_align: 8
    .kernarg_segment_size: 80
    .language:       OpenCL C
    .language_version:
      - 2
      - 0
    .max_flat_workgroup_size: 256
    .name:           _ZN9rocsparseL23check_matrix_csr_deviceILj256ELj32E21rocsparse_complex_numIdEllEEvT3_S3_T2_PKT1_PKS4_PKS3_SB_21rocsparse_index_base_22rocsparse_matrix_type_20rocsparse_fill_mode_23rocsparse_storage_mode_P22rocsparse_data_status_
    .private_segment_fixed_size: 0
    .sgpr_count:     52
    .sgpr_spill_count: 0
    .symbol:         _ZN9rocsparseL23check_matrix_csr_deviceILj256ELj32E21rocsparse_complex_numIdEllEEvT3_S3_T2_PKT1_PKS4_PKS3_SB_21rocsparse_index_base_22rocsparse_matrix_type_20rocsparse_fill_mode_23rocsparse_storage_mode_P22rocsparse_data_status_.kd
    .uniform_work_group_size: 1
    .uses_dynamic_stack: false
    .vgpr_count:     24
    .vgpr_spill_count: 0
    .wavefront_size: 64
  - .args:
      - .offset:         0
        .size:           8
        .value_kind:     by_value
      - .offset:         8
        .size:           8
        .value_kind:     by_value
      - .offset:         16
        .size:           8
        .value_kind:     by_value
      - .actual_access:  read_only
        .address_space:  global
        .offset:         24
        .size:           8
        .value_kind:     global_buffer
      - .actual_access:  read_only
        .address_space:  global
        .offset:         32
        .size:           8
        .value_kind:     global_buffer
      - .address_space:  global
        .offset:         40
        .size:           8
        .value_kind:     global_buffer
      - .address_space:  global
        .offset:         48
        .size:           8
        .value_kind:     global_buffer
      - .offset:         56
        .size:           4
        .value_kind:     by_value
      - .offset:         60
        .size:           4
        .value_kind:     by_value
      - .offset:         64
        .size:           4
        .value_kind:     by_value
      - .offset:         68
        .size:           4
        .value_kind:     by_value
      - .address_space:  global
        .offset:         72
        .size:           8
        .value_kind:     global_buffer
    .group_segment_fixed_size: 0
    .kernarg_segment_align: 8
    .kernarg_segment_size: 80
    .language:       OpenCL C
    .language_version:
      - 2
      - 0
    .max_flat_workgroup_size: 256
    .name:           _ZN9rocsparseL23check_matrix_csr_deviceILj256ELj64E21rocsparse_complex_numIdEllEEvT3_S3_T2_PKT1_PKS4_PKS3_SB_21rocsparse_index_base_22rocsparse_matrix_type_20rocsparse_fill_mode_23rocsparse_storage_mode_P22rocsparse_data_status_
    .private_segment_fixed_size: 0
    .sgpr_count:     52
    .sgpr_spill_count: 0
    .symbol:         _ZN9rocsparseL23check_matrix_csr_deviceILj256ELj64E21rocsparse_complex_numIdEllEEvT3_S3_T2_PKT1_PKS4_PKS3_SB_21rocsparse_index_base_22rocsparse_matrix_type_20rocsparse_fill_mode_23rocsparse_storage_mode_P22rocsparse_data_status_.kd
    .uniform_work_group_size: 1
    .uses_dynamic_stack: false
    .vgpr_count:     24
    .vgpr_spill_count: 0
    .wavefront_size: 64
  - .args:
      - .offset:         0
        .size:           8
        .value_kind:     by_value
      - .offset:         8
        .size:           8
        .value_kind:     by_value
      - .offset:         16
        .size:           8
        .value_kind:     by_value
      - .actual_access:  read_only
        .address_space:  global
        .offset:         24
        .size:           8
        .value_kind:     global_buffer
      - .actual_access:  read_only
        .address_space:  global
        .offset:         32
        .size:           8
        .value_kind:     global_buffer
      - .address_space:  global
        .offset:         40
        .size:           8
        .value_kind:     global_buffer
      - .address_space:  global
        .offset:         48
        .size:           8
        .value_kind:     global_buffer
      - .offset:         56
        .size:           4
        .value_kind:     by_value
      - .offset:         60
        .size:           4
        .value_kind:     by_value
      - .offset:         64
        .size:           4
        .value_kind:     by_value
      - .offset:         68
        .size:           4
        .value_kind:     by_value
      - .address_space:  global
        .offset:         72
        .size:           8
        .value_kind:     global_buffer
    .group_segment_fixed_size: 0
    .kernarg_segment_align: 8
    .kernarg_segment_size: 80
    .language:       OpenCL C
    .language_version:
      - 2
      - 0
    .max_flat_workgroup_size: 256
    .name:           _ZN9rocsparseL23check_matrix_csr_deviceILj256ELj128E21rocsparse_complex_numIdEllEEvT3_S3_T2_PKT1_PKS4_PKS3_SB_21rocsparse_index_base_22rocsparse_matrix_type_20rocsparse_fill_mode_23rocsparse_storage_mode_P22rocsparse_data_status_
    .private_segment_fixed_size: 0
    .sgpr_count:     52
    .sgpr_spill_count: 0
    .symbol:         _ZN9rocsparseL23check_matrix_csr_deviceILj256ELj128E21rocsparse_complex_numIdEllEEvT3_S3_T2_PKT1_PKS4_PKS3_SB_21rocsparse_index_base_22rocsparse_matrix_type_20rocsparse_fill_mode_23rocsparse_storage_mode_P22rocsparse_data_status_.kd
    .uniform_work_group_size: 1
    .uses_dynamic_stack: false
    .vgpr_count:     24
    .vgpr_spill_count: 0
    .wavefront_size: 64
  - .args:
      - .offset:         0
        .size:           8
        .value_kind:     by_value
      - .offset:         8
        .size:           8
        .value_kind:     by_value
      - .offset:         16
        .size:           8
        .value_kind:     by_value
      - .actual_access:  read_only
        .address_space:  global
        .offset:         24
        .size:           8
        .value_kind:     global_buffer
      - .actual_access:  read_only
        .address_space:  global
        .offset:         32
        .size:           8
        .value_kind:     global_buffer
      - .address_space:  global
        .offset:         40
        .size:           8
        .value_kind:     global_buffer
      - .address_space:  global
        .offset:         48
        .size:           8
        .value_kind:     global_buffer
      - .offset:         56
        .size:           4
        .value_kind:     by_value
      - .offset:         60
        .size:           4
        .value_kind:     by_value
      - .offset:         64
        .size:           4
        .value_kind:     by_value
      - .offset:         68
        .size:           4
        .value_kind:     by_value
      - .address_space:  global
        .offset:         72
        .size:           8
        .value_kind:     global_buffer
    .group_segment_fixed_size: 0
    .kernarg_segment_align: 8
    .kernarg_segment_size: 80
    .language:       OpenCL C
    .language_version:
      - 2
      - 0
    .max_flat_workgroup_size: 256
    .name:           _ZN9rocsparseL23check_matrix_csr_deviceILj256ELj256E21rocsparse_complex_numIdEllEEvT3_S3_T2_PKT1_PKS4_PKS3_SB_21rocsparse_index_base_22rocsparse_matrix_type_20rocsparse_fill_mode_23rocsparse_storage_mode_P22rocsparse_data_status_
    .private_segment_fixed_size: 0
    .sgpr_count:     54
    .sgpr_spill_count: 0
    .symbol:         _ZN9rocsparseL23check_matrix_csr_deviceILj256ELj256E21rocsparse_complex_numIdEllEEvT3_S3_T2_PKT1_PKS4_PKS3_SB_21rocsparse_index_base_22rocsparse_matrix_type_20rocsparse_fill_mode_23rocsparse_storage_mode_P22rocsparse_data_status_.kd
    .uniform_work_group_size: 1
    .uses_dynamic_stack: false
    .vgpr_count:     23
    .vgpr_spill_count: 0
    .wavefront_size: 64
amdhsa.target:   amdgcn-amd-amdhsa--gfx906
amdhsa.version:
  - 1
  - 2
...

	.end_amdgpu_metadata
